;; amdgpu-corpus repo=ROCm/rocFFT kind=compiled arch=gfx950 opt=O3
	.text
	.amdgcn_target "amdgcn-amd-amdhsa--gfx950"
	.amdhsa_code_object_version 6
	.protected	fft_rtc_back_len3240_factors_3_3_10_6_6_wgs_108_tpt_108_halfLds_dp_ip_CI_unitstride_sbrr_C2R_dirReg ; -- Begin function fft_rtc_back_len3240_factors_3_3_10_6_6_wgs_108_tpt_108_halfLds_dp_ip_CI_unitstride_sbrr_C2R_dirReg
	.globl	fft_rtc_back_len3240_factors_3_3_10_6_6_wgs_108_tpt_108_halfLds_dp_ip_CI_unitstride_sbrr_C2R_dirReg
	.p2align	8
	.type	fft_rtc_back_len3240_factors_3_3_10_6_6_wgs_108_tpt_108_halfLds_dp_ip_CI_unitstride_sbrr_C2R_dirReg,@function
fft_rtc_back_len3240_factors_3_3_10_6_6_wgs_108_tpt_108_halfLds_dp_ip_CI_unitstride_sbrr_C2R_dirReg: ; @fft_rtc_back_len3240_factors_3_3_10_6_6_wgs_108_tpt_108_halfLds_dp_ip_CI_unitstride_sbrr_C2R_dirReg
; %bb.0:
	s_load_dwordx2 s[8:9], s[0:1], 0x50
	s_load_dwordx4 s[4:7], s[0:1], 0x0
	s_load_dwordx2 s[10:11], s[0:1], 0x18
	v_mul_u32_u24_e32 v1, 0x25f, v0
	v_add_u32_sdwa v6, s2, v1 dst_sel:DWORD dst_unused:UNUSED_PAD src0_sel:DWORD src1_sel:WORD_1
	v_mov_b32_e32 v4, 0
	s_waitcnt lgkmcnt(0)
	v_cmp_lt_u64_e64 s[2:3], s[6:7], 2
	v_mov_b32_e32 v7, v4
	s_and_b64 vcc, exec, s[2:3]
	v_mov_b64_e32 v[2:3], 0
	s_cbranch_vccnz .LBB0_8
; %bb.1:
	s_load_dwordx2 s[2:3], s[0:1], 0x10
	s_add_u32 s12, s10, 8
	s_addc_u32 s13, s11, 0
	s_mov_b64 s[14:15], 1
	v_mov_b64_e32 v[2:3], 0
	s_waitcnt lgkmcnt(0)
	s_add_u32 s16, s2, 8
	s_addc_u32 s17, s3, 0
.LBB0_2:                                ; =>This Inner Loop Header: Depth=1
	s_load_dwordx2 s[18:19], s[16:17], 0x0
                                        ; implicit-def: $vgpr8_vgpr9
	s_waitcnt lgkmcnt(0)
	v_or_b32_e32 v5, s19, v7
	v_cmp_ne_u64_e32 vcc, 0, v[4:5]
	s_and_saveexec_b64 s[2:3], vcc
	s_xor_b64 s[20:21], exec, s[2:3]
	s_cbranch_execz .LBB0_4
; %bb.3:                                ;   in Loop: Header=BB0_2 Depth=1
	v_cvt_f32_u32_e32 v1, s18
	v_cvt_f32_u32_e32 v5, s19
	s_sub_u32 s2, 0, s18
	s_subb_u32 s3, 0, s19
	v_fmac_f32_e32 v1, 0x4f800000, v5
	v_rcp_f32_e32 v1, v1
	s_nop 0
	v_mul_f32_e32 v1, 0x5f7ffffc, v1
	v_mul_f32_e32 v5, 0x2f800000, v1
	v_trunc_f32_e32 v5, v5
	v_fmac_f32_e32 v1, 0xcf800000, v5
	v_cvt_u32_f32_e32 v5, v5
	v_cvt_u32_f32_e32 v1, v1
	v_mul_lo_u32 v8, s2, v5
	v_mul_hi_u32 v10, s2, v1
	v_mul_lo_u32 v9, s3, v1
	v_add_u32_e32 v10, v10, v8
	v_mul_lo_u32 v12, s2, v1
	v_add_u32_e32 v13, v10, v9
	v_mul_hi_u32 v8, v1, v12
	v_mul_hi_u32 v11, v1, v13
	v_mul_lo_u32 v10, v1, v13
	v_mov_b32_e32 v9, v4
	v_lshl_add_u64 v[8:9], v[8:9], 0, v[10:11]
	v_mul_hi_u32 v11, v5, v12
	v_mul_lo_u32 v12, v5, v12
	v_add_co_u32_e32 v8, vcc, v8, v12
	v_mul_hi_u32 v10, v5, v13
	s_nop 0
	v_addc_co_u32_e32 v8, vcc, v9, v11, vcc
	v_mov_b32_e32 v9, v4
	s_nop 0
	v_addc_co_u32_e32 v11, vcc, 0, v10, vcc
	v_mul_lo_u32 v10, v5, v13
	v_lshl_add_u64 v[8:9], v[8:9], 0, v[10:11]
	v_add_co_u32_e32 v1, vcc, v1, v8
	v_mul_lo_u32 v10, s2, v1
	s_nop 0
	v_addc_co_u32_e32 v5, vcc, v5, v9, vcc
	v_mul_lo_u32 v8, s2, v5
	v_mul_hi_u32 v9, s2, v1
	v_add_u32_e32 v8, v9, v8
	v_mul_lo_u32 v9, s3, v1
	v_add_u32_e32 v12, v8, v9
	v_mul_hi_u32 v14, v5, v10
	v_mul_lo_u32 v15, v5, v10
	v_mul_hi_u32 v9, v1, v12
	v_mul_lo_u32 v8, v1, v12
	v_mul_hi_u32 v10, v1, v10
	v_mov_b32_e32 v11, v4
	v_lshl_add_u64 v[8:9], v[10:11], 0, v[8:9]
	v_add_co_u32_e32 v8, vcc, v8, v15
	v_mul_hi_u32 v13, v5, v12
	s_nop 0
	v_addc_co_u32_e32 v8, vcc, v9, v14, vcc
	v_mul_lo_u32 v10, v5, v12
	s_nop 0
	v_addc_co_u32_e32 v11, vcc, 0, v13, vcc
	v_mov_b32_e32 v9, v4
	v_lshl_add_u64 v[8:9], v[8:9], 0, v[10:11]
	v_add_co_u32_e32 v1, vcc, v1, v8
	v_mul_hi_u32 v10, v6, v1
	s_nop 0
	v_addc_co_u32_e32 v5, vcc, v5, v9, vcc
	v_mad_u64_u32 v[8:9], s[2:3], v6, v5, 0
	v_mov_b32_e32 v11, v4
	v_lshl_add_u64 v[8:9], v[10:11], 0, v[8:9]
	v_mad_u64_u32 v[12:13], s[2:3], v7, v1, 0
	v_add_co_u32_e32 v1, vcc, v8, v12
	v_mad_u64_u32 v[10:11], s[2:3], v7, v5, 0
	s_nop 0
	v_addc_co_u32_e32 v8, vcc, v9, v13, vcc
	v_mov_b32_e32 v9, v4
	s_nop 0
	v_addc_co_u32_e32 v11, vcc, 0, v11, vcc
	v_lshl_add_u64 v[8:9], v[8:9], 0, v[10:11]
	v_mul_lo_u32 v1, s19, v8
	v_mul_lo_u32 v5, s18, v9
	v_mad_u64_u32 v[10:11], s[2:3], s18, v8, 0
	v_add3_u32 v1, v11, v5, v1
	v_sub_u32_e32 v5, v7, v1
	v_mov_b32_e32 v11, s19
	v_sub_co_u32_e32 v14, vcc, v6, v10
	v_lshl_add_u64 v[12:13], v[8:9], 0, 1
	s_nop 0
	v_subb_co_u32_e64 v5, s[2:3], v5, v11, vcc
	v_subrev_co_u32_e64 v10, s[2:3], s18, v14
	v_subb_co_u32_e32 v1, vcc, v7, v1, vcc
	s_nop 0
	v_subbrev_co_u32_e64 v5, s[2:3], 0, v5, s[2:3]
	v_cmp_le_u32_e64 s[2:3], s19, v5
	v_cmp_le_u32_e32 vcc, s19, v1
	s_nop 0
	v_cndmask_b32_e64 v11, 0, -1, s[2:3]
	v_cmp_le_u32_e64 s[2:3], s18, v10
	s_nop 1
	v_cndmask_b32_e64 v10, 0, -1, s[2:3]
	v_cmp_eq_u32_e64 s[2:3], s19, v5
	s_nop 1
	v_cndmask_b32_e64 v5, v11, v10, s[2:3]
	v_lshl_add_u64 v[10:11], v[8:9], 0, 2
	v_cmp_ne_u32_e64 s[2:3], 0, v5
	s_nop 1
	v_cndmask_b32_e64 v5, v13, v11, s[2:3]
	v_cndmask_b32_e64 v11, 0, -1, vcc
	v_cmp_le_u32_e32 vcc, s18, v14
	s_nop 1
	v_cndmask_b32_e64 v13, 0, -1, vcc
	v_cmp_eq_u32_e32 vcc, s19, v1
	s_nop 1
	v_cndmask_b32_e32 v1, v11, v13, vcc
	v_cmp_ne_u32_e32 vcc, 0, v1
	v_cndmask_b32_e64 v1, v12, v10, s[2:3]
	s_nop 0
	v_cndmask_b32_e32 v9, v9, v5, vcc
	v_cndmask_b32_e32 v8, v8, v1, vcc
.LBB0_4:                                ;   in Loop: Header=BB0_2 Depth=1
	s_andn2_saveexec_b64 s[2:3], s[20:21]
	s_cbranch_execz .LBB0_6
; %bb.5:                                ;   in Loop: Header=BB0_2 Depth=1
	v_cvt_f32_u32_e32 v1, s18
	s_sub_i32 s20, 0, s18
	v_rcp_iflag_f32_e32 v1, v1
	s_nop 0
	v_mul_f32_e32 v1, 0x4f7ffffe, v1
	v_cvt_u32_f32_e32 v1, v1
	v_mul_lo_u32 v5, s20, v1
	v_mul_hi_u32 v5, v1, v5
	v_add_u32_e32 v1, v1, v5
	v_mul_hi_u32 v1, v6, v1
	v_mul_lo_u32 v5, v1, s18
	v_sub_u32_e32 v5, v6, v5
	v_add_u32_e32 v8, 1, v1
	v_subrev_u32_e32 v9, s18, v5
	v_cmp_le_u32_e32 vcc, s18, v5
	s_nop 1
	v_cndmask_b32_e32 v5, v5, v9, vcc
	v_cndmask_b32_e32 v1, v1, v8, vcc
	v_add_u32_e32 v8, 1, v1
	v_cmp_le_u32_e32 vcc, s18, v5
	v_mov_b32_e32 v9, v4
	s_nop 0
	v_cndmask_b32_e32 v8, v1, v8, vcc
.LBB0_6:                                ;   in Loop: Header=BB0_2 Depth=1
	s_or_b64 exec, exec, s[2:3]
	v_mad_u64_u32 v[10:11], s[2:3], v8, s18, 0
	s_load_dwordx2 s[2:3], s[12:13], 0x0
	v_mul_lo_u32 v1, v9, s18
	v_mul_lo_u32 v5, v8, s19
	v_add3_u32 v1, v11, v5, v1
	v_sub_co_u32_e32 v5, vcc, v6, v10
	s_add_u32 s14, s14, 1
	s_nop 0
	v_subb_co_u32_e32 v1, vcc, v7, v1, vcc
	s_addc_u32 s15, s15, 0
	s_waitcnt lgkmcnt(0)
	v_mul_lo_u32 v1, s2, v1
	v_mul_lo_u32 v6, s3, v5
	v_mad_u64_u32 v[2:3], s[2:3], s2, v5, v[2:3]
	s_add_u32 s12, s12, 8
	v_add3_u32 v3, v6, v3, v1
	s_addc_u32 s13, s13, 0
	v_mov_b64_e32 v[6:7], s[6:7]
	s_add_u32 s16, s16, 8
	v_cmp_ge_u64_e32 vcc, s[14:15], v[6:7]
	s_addc_u32 s17, s17, 0
	s_cbranch_vccnz .LBB0_9
; %bb.7:                                ;   in Loop: Header=BB0_2 Depth=1
	v_mov_b64_e32 v[6:7], v[8:9]
	s_branch .LBB0_2
.LBB0_8:
	v_mov_b64_e32 v[8:9], v[6:7]
.LBB0_9:
	s_lshl_b64 s[2:3], s[6:7], 3
	s_add_u32 s2, s10, s2
	s_addc_u32 s3, s11, s3
	s_load_dwordx2 s[6:7], s[2:3], 0x0
	s_load_dwordx2 s[10:11], s[0:1], 0x20
	s_mov_b32 s2, 0x25ed098
	s_waitcnt lgkmcnt(0)
	v_mul_lo_u32 v1, s6, v9
	v_mul_lo_u32 v4, s7, v8
	v_mad_u64_u32 v[2:3], s[0:1], s6, v8, v[2:3]
	v_add3_u32 v3, v4, v3, v1
	v_mul_hi_u32 v1, v0, s2
	v_mul_u32_u24_e32 v1, 0x6c, v1
	v_cmp_gt_u64_e64 s[0:1], s[10:11], v[8:9]
	v_sub_u32_e32 v134, v0, v1
	v_lshl_add_u64 v[132:133], v[2:3], 4, s[8:9]
	s_and_saveexec_b64 s[2:3], s[0:1]
	s_cbranch_execz .LBB0_13
; %bb.10:
	v_mov_b32_e32 v135, 0
	v_lshl_add_u64 v[112:113], v[134:135], 4, v[132:133]
	v_add_co_u32_e32 v32, vcc, 0x1000, v112
	global_load_dwordx4 v[0:3], v[112:113], off
	global_load_dwordx4 v[4:7], v[112:113], off offset:1728
	v_addc_co_u32_e32 v33, vcc, 0, v113, vcc
	v_add_co_u32_e32 v34, vcc, 0x2000, v112
	global_load_dwordx4 v[8:11], v[112:113], off offset:3456
	global_load_dwordx4 v[12:15], v[32:33], off offset:1088
	v_addc_co_u32_e32 v35, vcc, 0, v113, vcc
	v_add_co_u32_e32 v40, vcc, 0x3000, v112
	global_load_dwordx4 v[16:19], v[32:33], off offset:2816
	global_load_dwordx4 v[20:23], v[34:35], off offset:448
	;; [unrolled: 1-line block ×4, first 2 shown]
	v_addc_co_u32_e32 v41, vcc, 0, v113, vcc
	v_add_co_u32_e32 v48, vcc, 0x4000, v112
	global_load_dwordx4 v[32:35], v[40:41], off offset:1536
	global_load_dwordx4 v[36:39], v[40:41], off offset:3264
	v_addc_co_u32_e32 v49, vcc, 0, v113, vcc
	v_add_co_u32_e32 v64, vcc, 0x5000, v112
	global_load_dwordx4 v[40:43], v[48:49], off offset:896
	global_load_dwordx4 v[44:47], v[48:49], off offset:2624
	;; [unrolled: 4-line block ×6, first 2 shown]
	global_load_dwordx4 v[80:83], v[90:91], off offset:1792
	global_load_dwordx4 v[84:87], v[90:91], off offset:3520
	v_addc_co_u32_e32 v97, vcc, 0, v113, vcc
	v_add_co_u32_e32 v114, vcc, 0xa000, v112
	global_load_dwordx4 v[88:91], v[96:97], off offset:1152
	global_load_dwordx4 v[92:95], v[96:97], off offset:2880
	v_addc_co_u32_e32 v115, vcc, 0, v113, vcc
	v_add_co_u32_e32 v120, vcc, 0xb000, v112
	;; [unrolled: 4-line block ×3, first 2 shown]
	global_load_dwordx4 v[104:107], v[114:115], off offset:3968
	global_load_dwordx4 v[108:111], v[120:121], off offset:1600
	v_addc_co_u32_e32 v123, vcc, 0, v113, vcc
	global_load_dwordx4 v[112:115], v[120:121], off offset:3328
	global_load_dwordx4 v[116:119], v[122:123], off offset:960
	s_movk_i32 s6, 0x6b
	v_lshl_add_u32 v120, v134, 4, 0
	v_cmp_eq_u32_e32 vcc, s6, v134
	s_waitcnt vmcnt(29)
	ds_write_b128 v120, v[0:3]
	s_waitcnt vmcnt(28)
	ds_write_b128 v120, v[4:7] offset:1728
	s_waitcnt vmcnt(27)
	ds_write_b128 v120, v[8:11] offset:3456
	;; [unrolled: 2-line block ×29, first 2 shown]
	s_and_saveexec_b64 s[6:7], vcc
	s_cbranch_execz .LBB0_12
; %bb.11:
	v_add_co_u32_e32 v0, vcc, 0xc000, v132
	v_mov_b32_e32 v134, 0x6b
	s_nop 0
	v_addc_co_u32_e32 v1, vcc, 0, v133, vcc
	global_load_dwordx4 v[0:3], v[0:1], off offset:2688
	s_waitcnt vmcnt(0)
	ds_write_b128 v135, v[0:3] offset:51840
.LBB0_12:
	s_or_b64 exec, exec, s[6:7]
.LBB0_13:
	s_or_b64 exec, exec, s[2:3]
	v_lshlrev_b32_e32 v0, 4, v134
	v_add_u32_e32 v160, 0, v0
	s_waitcnt lgkmcnt(0)
	s_barrier
	v_sub_u32_e32 v28, 0, v0
	ds_read_b64 v[2:3], v160
	ds_read_b64 v[4:5], v28 offset:51840
	s_add_u32 s2, s4, 0xca50
	s_addc_u32 s3, s5, 0
	v_cmp_ne_u32_e32 vcc, 0, v134
                                        ; implicit-def: $vgpr0_vgpr1
	s_waitcnt lgkmcnt(0)
	v_add_f64 v[12:13], v[2:3], v[4:5]
	v_add_f64 v[14:15], v[2:3], -v[4:5]
	s_and_saveexec_b64 s[6:7], vcc
	s_xor_b64 s[6:7], exec, s[6:7]
	s_cbranch_execz .LBB0_15
; %bb.14:
	v_mov_b32_e32 v135, 0
	v_lshl_add_u64 v[0:1], v[134:135], 4, s[2:3]
	global_load_dwordx4 v[6:9], v[0:1], off
	ds_read_b64 v[0:1], v28 offset:51848
	ds_read_b64 v[10:11], v160 offset:8
	v_add_f64 v[12:13], v[2:3], v[4:5]
	v_add_f64 v[4:5], v[2:3], -v[4:5]
	s_waitcnt lgkmcnt(0)
	v_add_f64 v[16:17], v[0:1], v[10:11]
	v_add_f64 v[2:3], v[10:11], -v[0:1]
	s_waitcnt vmcnt(0)
	v_fma_f64 v[14:15], v[16:17], v[8:9], v[2:3]
	v_fma_f64 v[0:1], -v[4:5], v[8:9], v[12:13]
	v_fma_f64 v[2:3], v[16:17], v[8:9], -v[2:3]
	v_fma_f64 v[10:11], v[4:5], v[8:9], v[12:13]
	v_fmac_f64_e32 v[0:1], v[16:17], v[6:7]
	v_fmac_f64_e32 v[2:3], v[4:5], v[6:7]
	v_fma_f64 v[12:13], -v[16:17], v[6:7], v[10:11]
	v_fmac_f64_e32 v[14:15], v[4:5], v[6:7]
	ds_write_b128 v28, v[0:3] offset:51840
	v_mov_b64_e32 v[0:1], v[134:135]
.LBB0_15:
	s_andn2_saveexec_b64 s[6:7], s[6:7]
	s_cbranch_execz .LBB0_17
; %bb.16:
	v_mov_b32_e32 v4, 0
	ds_read_b128 v[0:3], v4 offset:25920
	s_waitcnt lgkmcnt(0)
	v_add_f64 v[0:1], v[0:1], v[0:1]
	v_mul_f64 v[2:3], v[2:3], -2.0
	ds_write_b128 v4, v[0:3] offset:25920
	v_mov_b64_e32 v[0:1], 0
.LBB0_17:
	s_or_b64 exec, exec, s[6:7]
	v_lshl_add_u64 v[24:25], v[0:1], 4, s[2:3]
	global_load_dwordx4 v[20:23], v[24:25], off offset:1728
	v_add_u32_e32 v136, 0xd8, v134
	v_mov_b32_e32 v137, 0
	v_lshl_add_u64 v[0:1], v[136:137], 4, s[2:3]
	global_load_dwordx4 v[8:11], v[0:1], off
	v_add_u32_e32 v138, 0x144, v134
	v_mov_b32_e32 v139, v137
	v_lshl_add_u64 v[0:1], v[138:139], 4, s[2:3]
	global_load_dwordx4 v[0:3], v[0:1], off
	s_movk_i32 s2, 0x1000
	v_add_co_u32_e32 v4, vcc, s2, v24
	s_movk_i32 s24, 0x2000
	s_nop 0
	v_addc_co_u32_e32 v5, vcc, 0, v25, vcc
	global_load_dwordx4 v[4:7], v[4:5], off offset:2816
	v_add_co_u32_e32 v26, vcc, s24, v24
	ds_write_b128 v160, v[12:15]
	s_nop 0
	v_addc_co_u32_e32 v27, vcc, 0, v25, vcc
	ds_read_b128 v[12:15], v160 offset:1728
	ds_read_b128 v[30:33], v28 offset:50112
	global_load_dwordx4 v[16:19], v[26:27], off offset:448
	v_lshl_add_u32 v161, v136, 4, 0
	v_lshl_add_u32 v135, v138, 4, 0
	s_movk_i32 s2, 0x3000
	s_waitcnt lgkmcnt(0)
	v_add_f64 v[34:35], v[12:13], v[30:31]
	v_add_f64 v[36:37], v[32:33], v[14:15]
	v_add_f64 v[38:39], v[12:13], -v[30:31]
	v_add_f64 v[12:13], v[14:15], -v[32:33]
	s_movk_i32 s25, 0x4000
	s_mov_b32 s6, 0xe8584caa
	s_mov_b32 s7, 0xbfebb67a
	s_mov_b32 s3, 0x3febb67a
	s_movk_i32 s8, 0xab
	v_mov_b32_e32 v163, 5
	v_add_u16_e32 v164, 0x6c, v134
	v_add_u32_e32 v139, 0x1b0, v134
	v_mov_b32_e32 v162, 4
	s_mov_b32 s9, 0x5040100
	s_mov_b32 s16, 0x134454ff
	;; [unrolled: 1-line block ×15, first 2 shown]
	s_waitcnt vmcnt(4)
	v_fma_f64 v[40:41], v[38:39], v[22:23], v[34:35]
	v_fma_f64 v[14:15], v[36:37], v[22:23], v[12:13]
	v_fma_f64 v[30:31], -v[38:39], v[22:23], v[34:35]
	v_fma_f64 v[32:33], v[36:37], v[22:23], -v[12:13]
	v_fma_f64 v[12:13], -v[36:37], v[20:21], v[40:41]
	v_fmac_f64_e32 v[14:15], v[38:39], v[20:21]
	v_fmac_f64_e32 v[30:31], v[36:37], v[20:21]
	;; [unrolled: 1-line block ×3, first 2 shown]
	ds_write_b128 v160, v[12:15] offset:1728
	ds_write_b128 v28, v[30:33] offset:50112
	ds_read_b128 v[20:23], v161
	ds_read_b128 v[30:33], v28 offset:48384
	global_load_dwordx4 v[12:15], v[26:27], off offset:2176
	s_waitcnt lgkmcnt(0)
	v_add_f64 v[34:35], v[20:21], v[30:31]
	v_add_f64 v[36:37], v[32:33], v[22:23]
	v_add_f64 v[38:39], v[20:21], -v[30:31]
	v_add_f64 v[20:21], v[22:23], -v[32:33]
	s_waitcnt vmcnt(4)
	v_fma_f64 v[40:41], v[38:39], v[10:11], v[34:35]
	v_fma_f64 v[22:23], v[36:37], v[10:11], v[20:21]
	v_fma_f64 v[30:31], -v[38:39], v[10:11], v[34:35]
	v_fma_f64 v[32:33], v[36:37], v[10:11], -v[20:21]
	v_fma_f64 v[20:21], -v[36:37], v[8:9], v[40:41]
	v_fmac_f64_e32 v[22:23], v[38:39], v[8:9]
	v_fmac_f64_e32 v[30:31], v[36:37], v[8:9]
	;; [unrolled: 1-line block ×3, first 2 shown]
	ds_write_b128 v161, v[20:23]
	ds_write_b128 v28, v[30:33] offset:48384
	ds_read_b128 v[8:11], v135
	ds_read_b128 v[30:33], v28 offset:46656
	global_load_dwordx4 v[20:23], v[26:27], off offset:3904
	s_waitcnt lgkmcnt(0)
	v_add_f64 v[26:27], v[8:9], v[30:31]
	v_add_f64 v[34:35], v[32:33], v[10:11]
	v_add_f64 v[36:37], v[8:9], -v[30:31]
	v_add_f64 v[8:9], v[10:11], -v[32:33]
	s_waitcnt vmcnt(4)
	v_fma_f64 v[38:39], v[36:37], v[2:3], v[26:27]
	v_fma_f64 v[10:11], v[34:35], v[2:3], v[8:9]
	v_fma_f64 v[30:31], -v[36:37], v[2:3], v[26:27]
	v_fma_f64 v[32:33], v[34:35], v[2:3], -v[8:9]
	v_fma_f64 v[8:9], -v[34:35], v[0:1], v[38:39]
	v_fmac_f64_e32 v[10:11], v[36:37], v[0:1]
	v_fmac_f64_e32 v[30:31], v[34:35], v[0:1]
	;; [unrolled: 1-line block ×3, first 2 shown]
	ds_write_b128 v135, v[8:11]
	ds_write_b128 v28, v[30:33] offset:46656
	ds_read_b128 v[8:11], v160 offset:6912
	ds_read_b128 v[30:33], v28 offset:44928
	v_add_co_u32_e32 v26, vcc, s2, v24
	s_movk_i32 s2, 0x5000
	s_nop 0
	v_addc_co_u32_e32 v27, vcc, 0, v25, vcc
	global_load_dwordx4 v[0:3], v[26:27], off offset:1536
	s_waitcnt lgkmcnt(0)
	v_add_f64 v[34:35], v[8:9], v[30:31]
	v_add_f64 v[36:37], v[32:33], v[10:11]
	v_add_f64 v[38:39], v[8:9], -v[30:31]
	v_add_f64 v[10:11], v[10:11], -v[32:33]
	s_waitcnt vmcnt(4)
	v_fma_f64 v[40:41], v[38:39], v[6:7], v[34:35]
	v_fma_f64 v[8:9], v[36:37], v[6:7], v[10:11]
	v_fma_f64 v[30:31], -v[38:39], v[6:7], v[34:35]
	v_fma_f64 v[32:33], v[36:37], v[6:7], -v[10:11]
	v_fma_f64 v[6:7], -v[36:37], v[4:5], v[40:41]
	v_fmac_f64_e32 v[8:9], v[38:39], v[4:5]
	v_fmac_f64_e32 v[30:31], v[36:37], v[4:5]
	;; [unrolled: 1-line block ×3, first 2 shown]
	ds_write_b128 v160, v[6:9] offset:6912
	ds_write_b128 v28, v[30:33] offset:44928
	ds_read_b128 v[4:7], v160 offset:8640
	ds_read_b128 v[8:11], v28 offset:43200
	s_waitcnt lgkmcnt(0)
	v_add_f64 v[30:31], v[4:5], v[8:9]
	v_add_f64 v[32:33], v[10:11], v[6:7]
	v_add_f64 v[34:35], v[4:5], -v[8:9]
	v_add_f64 v[4:5], v[6:7], -v[10:11]
	s_waitcnt vmcnt(3)
	v_fma_f64 v[36:37], v[34:35], v[18:19], v[30:31]
	v_fma_f64 v[6:7], v[32:33], v[18:19], v[4:5]
	v_fma_f64 v[8:9], -v[34:35], v[18:19], v[30:31]
	v_fma_f64 v[10:11], v[32:33], v[18:19], -v[4:5]
	v_fma_f64 v[4:5], -v[32:33], v[16:17], v[36:37]
	v_fmac_f64_e32 v[6:7], v[34:35], v[16:17]
	v_fmac_f64_e32 v[8:9], v[32:33], v[16:17]
	;; [unrolled: 1-line block ×3, first 2 shown]
	ds_write_b128 v160, v[4:7] offset:8640
	ds_write_b128 v28, v[8:11] offset:43200
	ds_read_b128 v[4:7], v160 offset:10368
	ds_read_b128 v[16:19], v28 offset:41472
	global_load_dwordx4 v[8:11], v[26:27], off offset:3264
	s_waitcnt lgkmcnt(0)
	v_add_f64 v[26:27], v[4:5], v[16:17]
	v_add_f64 v[30:31], v[18:19], v[6:7]
	v_add_f64 v[32:33], v[4:5], -v[16:17]
	v_add_f64 v[4:5], v[6:7], -v[18:19]
	s_waitcnt vmcnt(3)
	v_fma_f64 v[34:35], v[32:33], v[14:15], v[26:27]
	v_fma_f64 v[6:7], v[30:31], v[14:15], v[4:5]
	v_fma_f64 v[16:17], -v[32:33], v[14:15], v[26:27]
	v_add_co_u32_e32 v26, vcc, s25, v24
	v_fma_f64 v[18:19], v[30:31], v[14:15], -v[4:5]
	v_fma_f64 v[4:5], -v[30:31], v[12:13], v[34:35]
	v_fmac_f64_e32 v[6:7], v[32:33], v[12:13]
	v_addc_co_u32_e32 v27, vcc, 0, v25, vcc
	ds_write_b128 v160, v[4:7] offset:10368
	global_load_dwordx4 v[4:7], v[26:27], off offset:896
	v_fmac_f64_e32 v[16:17], v[30:31], v[12:13]
	v_fmac_f64_e32 v[18:19], v[32:33], v[12:13]
	ds_write_b128 v28, v[16:19] offset:41472
	ds_read_b128 v[12:15], v160 offset:12096
	ds_read_b128 v[16:19], v28 offset:39744
	s_waitcnt lgkmcnt(0)
	v_add_f64 v[30:31], v[12:13], v[16:17]
	v_add_f64 v[32:33], v[18:19], v[14:15]
	v_add_f64 v[34:35], v[12:13], -v[16:17]
	v_add_f64 v[18:19], v[14:15], -v[18:19]
	s_waitcnt vmcnt(3)
	v_fma_f64 v[12:13], v[34:35], v[22:23], v[30:31]
	v_fma_f64 v[14:15], v[32:33], v[22:23], v[18:19]
	v_fma_f64 v[12:13], -v[32:33], v[20:21], v[12:13]
	v_fmac_f64_e32 v[14:15], v[34:35], v[20:21]
	ds_write_b128 v160, v[12:15] offset:12096
	global_load_dwordx4 v[12:15], v[26:27], off offset:2624
	v_fma_f64 v[16:17], -v[34:35], v[22:23], v[30:31]
	v_fma_f64 v[18:19], v[32:33], v[22:23], -v[18:19]
	v_fmac_f64_e32 v[16:17], v[32:33], v[20:21]
	v_fmac_f64_e32 v[18:19], v[34:35], v[20:21]
	ds_write_b128 v28, v[16:19] offset:39744
	ds_read_b128 v[16:19], v160 offset:13824
	ds_read_b128 v[20:23], v28 offset:38016
	s_waitcnt lgkmcnt(0)
	v_add_f64 v[26:27], v[16:17], v[20:21]
	v_add_f64 v[36:37], v[16:17], -v[20:21]
	v_add_co_u32_e32 v20, vcc, s2, v24
	v_add_f64 v[34:35], v[22:23], v[18:19]
	s_waitcnt vmcnt(3)
	v_fma_f64 v[16:17], v[36:37], v[2:3], v[26:27]
	v_addc_co_u32_e32 v21, vcc, 0, v25, vcc
	v_add_f64 v[38:39], v[18:19], -v[22:23]
	v_fma_f64 v[30:31], -v[34:35], v[0:1], v[16:17]
	global_load_dwordx4 v[16:19], v[20:21], off offset:256
	v_fma_f64 v[32:33], v[34:35], v[2:3], v[38:39]
	v_fma_f64 v[22:23], -v[36:37], v[2:3], v[26:27]
	v_fma_f64 v[24:25], v[34:35], v[2:3], -v[38:39]
	v_fmac_f64_e32 v[32:33], v[36:37], v[0:1]
	v_fmac_f64_e32 v[22:23], v[34:35], v[0:1]
	;; [unrolled: 1-line block ×3, first 2 shown]
	ds_write_b128 v160, v[30:33] offset:13824
	ds_write_b128 v28, v[22:25] offset:38016
	ds_read_b128 v[0:3], v160 offset:15552
	ds_read_b128 v[22:25], v28 offset:36288
	s_mov_b32 s2, s6
	s_waitcnt lgkmcnt(0)
	v_add_f64 v[26:27], v[0:1], v[22:23]
	v_add_f64 v[30:31], v[24:25], v[2:3]
	v_add_f64 v[32:33], v[0:1], -v[22:23]
	v_add_f64 v[34:35], v[2:3], -v[24:25]
	global_load_dwordx4 v[22:25], v[20:21], off offset:1984
	s_waitcnt vmcnt(4)
	v_fma_f64 v[0:1], v[32:33], v[10:11], v[26:27]
	v_fma_f64 v[2:3], v[30:31], v[10:11], v[34:35]
	v_fma_f64 v[0:1], -v[30:31], v[8:9], v[0:1]
	v_fmac_f64_e32 v[2:3], v[32:33], v[8:9]
	ds_write_b128 v160, v[0:3] offset:15552
	v_fma_f64 v[0:1], -v[32:33], v[10:11], v[26:27]
	v_fma_f64 v[2:3], v[30:31], v[10:11], -v[34:35]
	v_fmac_f64_e32 v[0:1], v[30:31], v[8:9]
	v_fmac_f64_e32 v[2:3], v[32:33], v[8:9]
	ds_write_b128 v28, v[0:3] offset:36288
	ds_read_b128 v[0:3], v160 offset:17280
	ds_read_b128 v[8:11], v28 offset:34560
	s_waitcnt lgkmcnt(0)
	v_add_f64 v[26:27], v[0:1], v[8:9]
	v_add_f64 v[30:31], v[10:11], v[2:3]
	v_add_f64 v[32:33], v[0:1], -v[8:9]
	v_add_f64 v[34:35], v[2:3], -v[10:11]
	global_load_dwordx4 v[0:3], v[20:21], off offset:3712
	s_waitcnt vmcnt(4)
	v_fma_f64 v[8:9], v[32:33], v[6:7], v[26:27]
	v_fma_f64 v[10:11], v[30:31], v[6:7], v[34:35]
	v_fma_f64 v[8:9], -v[30:31], v[4:5], v[8:9]
	v_fmac_f64_e32 v[10:11], v[32:33], v[4:5]
	ds_write_b128 v160, v[8:11] offset:17280
	v_fma_f64 v[8:9], -v[32:33], v[6:7], v[26:27]
	v_fma_f64 v[10:11], v[30:31], v[6:7], -v[34:35]
	v_fmac_f64_e32 v[8:9], v[30:31], v[4:5]
	v_fmac_f64_e32 v[10:11], v[32:33], v[4:5]
	ds_write_b128 v28, v[8:11] offset:34560
	ds_read_b128 v[4:7], v160 offset:19008
	ds_read_b128 v[8:11], v28 offset:32832
	s_waitcnt lgkmcnt(0)
	v_add_f64 v[20:21], v[4:5], v[8:9]
	v_add_f64 v[26:27], v[10:11], v[6:7]
	v_add_f64 v[8:9], v[4:5], -v[8:9]
	v_add_f64 v[10:11], v[6:7], -v[10:11]
	s_waitcnt vmcnt(3)
	v_fma_f64 v[4:5], v[8:9], v[14:15], v[20:21]
	v_fma_f64 v[6:7], v[26:27], v[14:15], v[10:11]
	v_fma_f64 v[4:5], -v[26:27], v[12:13], v[4:5]
	v_fmac_f64_e32 v[6:7], v[8:9], v[12:13]
	ds_write_b128 v160, v[4:7] offset:19008
	v_fma_f64 v[4:5], -v[8:9], v[14:15], v[20:21]
	v_fma_f64 v[6:7], v[26:27], v[14:15], -v[10:11]
	v_fmac_f64_e32 v[4:5], v[26:27], v[12:13]
	v_fmac_f64_e32 v[6:7], v[8:9], v[12:13]
	ds_write_b128 v28, v[4:7] offset:32832
	ds_read_b128 v[4:7], v160 offset:20736
	ds_read_b128 v[8:11], v28 offset:31104
	s_waitcnt lgkmcnt(0)
	v_add_f64 v[12:13], v[4:5], v[8:9]
	v_add_f64 v[14:15], v[10:11], v[6:7]
	v_add_f64 v[8:9], v[4:5], -v[8:9]
	v_add_f64 v[10:11], v[6:7], -v[10:11]
	;; [unrolled: 18-line block ×4, first 2 shown]
	s_waitcnt vmcnt(0)
	v_fma_f64 v[4:5], v[8:9], v[2:3], v[12:13]
	v_fma_f64 v[6:7], v[14:15], v[2:3], v[10:11]
	v_fma_f64 v[4:5], -v[14:15], v[0:1], v[4:5]
	v_fmac_f64_e32 v[6:7], v[8:9], v[0:1]
	ds_write_b128 v160, v[4:7] offset:24192
	v_fma_f64 v[4:5], -v[8:9], v[2:3], v[12:13]
	v_fma_f64 v[6:7], v[14:15], v[2:3], -v[10:11]
	v_fmac_f64_e32 v[4:5], v[14:15], v[0:1]
	v_fmac_f64_e32 v[6:7], v[8:9], v[0:1]
	ds_write_b128 v28, v[4:7] offset:27648
	s_waitcnt lgkmcnt(0)
	s_barrier
	s_barrier
	ds_read_b128 v[36:39], v160
	ds_read_b128 v[72:75], v160 offset:17280
	ds_read_b128 v[110:113], v160 offset:34560
	;; [unrolled: 1-line block ×29, first 2 shown]
	s_waitcnt lgkmcnt(14)
	v_add_f64 v[76:77], v[36:37], v[72:73]
	v_add_f64 v[96:97], v[76:77], v[110:111]
	;; [unrolled: 1-line block ×3, first 2 shown]
	v_fmac_f64_e32 v[36:37], -0.5, v[76:77]
	v_add_f64 v[78:79], v[74:75], -v[112:113]
	v_fma_f64 v[76:77], s[6:7], v[78:79], v[36:37]
	v_fmac_f64_e32 v[36:37], s[2:3], v[78:79]
	v_add_f64 v[78:79], v[38:39], v[74:75]
	v_add_f64 v[74:75], v[74:75], v[112:113]
	v_fmac_f64_e32 v[38:39], -0.5, v[74:75]
	v_add_f64 v[72:73], v[72:73], -v[110:111]
	v_add_f64 v[98:99], v[78:79], v[112:113]
	v_fma_f64 v[78:79], s[2:3], v[72:73], v[38:39]
	v_fmac_f64_e32 v[38:39], s[6:7], v[72:73]
	v_add_f64 v[72:73], v[28:29], v[80:81]
	v_add_f64 v[112:113], v[72:73], v[84:85]
	v_add_f64 v[72:73], v[80:81], v[84:85]
	v_fmac_f64_e32 v[28:29], -0.5, v[72:73]
	v_add_f64 v[74:75], v[82:83], -v[86:87]
	v_fma_f64 v[72:73], s[6:7], v[74:75], v[28:29]
	v_fmac_f64_e32 v[28:29], s[2:3], v[74:75]
	v_add_f64 v[74:75], v[30:31], v[82:83]
	v_add_f64 v[114:115], v[74:75], v[86:87]
	v_add_f64 v[74:75], v[82:83], v[86:87]
	v_fmac_f64_e32 v[30:31], -0.5, v[74:75]
	v_add_f64 v[80:81], v[80:81], -v[84:85]
	;; [unrolled: 7-line block ×5, first 2 shown]
	v_fma_f64 v[100:101], s[6:7], v[106:107], v[24:25]
	v_fmac_f64_e32 v[24:25], s[2:3], v[106:107]
	v_add_f64 v[106:107], v[26:27], v[104:105]
	v_add_f64 v[104:105], v[104:105], v[118:119]
	v_fmac_f64_e32 v[26:27], -0.5, v[104:105]
	v_add_f64 v[104:105], v[102:103], -v[116:117]
	v_fma_f64 v[102:103], s[2:3], v[104:105], v[26:27]
	v_fmac_f64_e32 v[26:27], s[6:7], v[104:105]
	v_add_f64 v[104:105], v[20:21], v[120:121]
	v_add_f64 v[116:117], v[104:105], v[124:125]
	;; [unrolled: 1-line block ×4, first 2 shown]
	v_fmac_f64_e32 v[20:21], -0.5, v[104:105]
	v_add_f64 v[106:107], v[122:123], -v[126:127]
	v_fma_f64 v[104:105], s[6:7], v[106:107], v[20:21]
	v_fmac_f64_e32 v[20:21], s[2:3], v[106:107]
	v_add_f64 v[106:107], v[22:23], v[122:123]
	v_add_f64 v[118:119], v[106:107], v[126:127]
	;; [unrolled: 1-line block ×3, first 2 shown]
	v_fmac_f64_e32 v[22:23], -0.5, v[106:107]
	v_add_f64 v[120:121], v[120:121], -v[124:125]
	v_fma_f64 v[106:107], s[2:3], v[120:121], v[22:23]
	v_fmac_f64_e32 v[22:23], s[6:7], v[120:121]
	s_waitcnt lgkmcnt(12)
	v_add_f64 v[120:121], v[16:17], v[88:89]
	s_waitcnt lgkmcnt(10)
	v_add_f64 v[124:125], v[120:121], v[92:93]
	v_add_f64 v[120:121], v[88:89], v[92:93]
	v_fmac_f64_e32 v[16:17], -0.5, v[120:121]
	v_add_f64 v[122:123], v[90:91], -v[94:95]
	v_fma_f64 v[120:121], s[6:7], v[122:123], v[16:17]
	v_fmac_f64_e32 v[16:17], s[2:3], v[122:123]
	v_add_f64 v[122:123], v[18:19], v[90:91]
	v_add_f64 v[90:91], v[90:91], v[94:95]
	v_fmac_f64_e32 v[18:19], -0.5, v[90:91]
	v_add_f64 v[88:89], v[88:89], -v[92:93]
	v_add_f64 v[126:127], v[122:123], v[94:95]
	v_fma_f64 v[122:123], s[2:3], v[88:89], v[18:19]
	v_fmac_f64_e32 v[18:19], s[6:7], v[88:89]
	v_add_f64 v[88:89], v[12:13], v[64:65]
	s_waitcnt lgkmcnt(9)
	v_add_f64 v[92:93], v[88:89], v[68:69]
	v_add_f64 v[88:89], v[64:65], v[68:69]
	v_fmac_f64_e32 v[12:13], -0.5, v[88:89]
	v_add_f64 v[90:91], v[66:67], -v[70:71]
	v_fma_f64 v[88:89], s[6:7], v[90:91], v[12:13]
	v_fmac_f64_e32 v[12:13], s[2:3], v[90:91]
	v_add_f64 v[90:91], v[14:15], v[66:67]
	v_add_f64 v[66:67], v[66:67], v[70:71]
	v_fmac_f64_e32 v[14:15], -0.5, v[66:67]
	v_add_f64 v[64:65], v[64:65], -v[68:69]
	s_waitcnt lgkmcnt(4)
	v_add_f64 v[66:67], v[56:57], v[60:61]
	v_add_f64 v[94:95], v[90:91], v[70:71]
	v_fma_f64 v[90:91], s[2:3], v[64:65], v[14:15]
	v_fmac_f64_e32 v[14:15], s[6:7], v[64:65]
	v_add_f64 v[64:65], v[8:9], v[56:57]
	v_fmac_f64_e32 v[8:9], -0.5, v[66:67]
	v_add_f64 v[68:69], v[58:59], -v[62:63]
	v_fma_f64 v[66:67], s[6:7], v[68:69], v[8:9]
	v_fmac_f64_e32 v[8:9], s[2:3], v[68:69]
	v_add_f64 v[68:69], v[10:11], v[58:59]
	v_add_f64 v[58:59], v[58:59], v[62:63]
	v_add_f64 v[64:65], v[64:65], v[60:61]
	v_fmac_f64_e32 v[10:11], -0.5, v[58:59]
	v_add_f64 v[58:59], v[56:57], -v[60:61]
	s_waitcnt lgkmcnt(3)
	v_add_f64 v[60:61], v[48:49], v[52:53]
	v_add_f64 v[68:69], v[68:69], v[62:63]
	v_fma_f64 v[56:57], s[2:3], v[58:59], v[10:11]
	v_fmac_f64_e32 v[10:11], s[6:7], v[58:59]
	v_add_f64 v[58:59], v[4:5], v[48:49]
	v_fmac_f64_e32 v[4:5], -0.5, v[60:61]
	v_add_f64 v[62:63], v[50:51], -v[54:55]
	v_fma_f64 v[60:61], s[6:7], v[62:63], v[4:5]
	v_fmac_f64_e32 v[4:5], s[2:3], v[62:63]
	v_add_f64 v[62:63], v[6:7], v[50:51]
	v_add_f64 v[50:51], v[50:51], v[54:55]
	v_add_f64 v[58:59], v[58:59], v[52:53]
	v_fmac_f64_e32 v[6:7], -0.5, v[50:51]
	v_add_f64 v[50:51], v[48:49], -v[52:53]
	s_waitcnt lgkmcnt(0)
	v_add_f64 v[52:53], v[40:41], v[44:45]
	v_add_f64 v[62:63], v[62:63], v[54:55]
	v_fma_f64 v[48:49], s[2:3], v[50:51], v[6:7]
	v_fmac_f64_e32 v[6:7], s[6:7], v[50:51]
	v_add_f64 v[50:51], v[0:1], v[40:41]
	v_fmac_f64_e32 v[0:1], -0.5, v[52:53]
	v_add_f64 v[54:55], v[42:43], -v[46:47]
	v_fma_f64 v[52:53], s[6:7], v[54:55], v[0:1]
	v_fmac_f64_e32 v[0:1], s[2:3], v[54:55]
	v_add_f64 v[54:55], v[2:3], v[42:43]
	v_add_f64 v[42:43], v[42:43], v[46:47]
	v_fmac_f64_e32 v[2:3], -0.5, v[42:43]
	v_add_f64 v[42:43], v[40:41], -v[44:45]
	v_fma_f64 v[40:41], s[2:3], v[42:43], v[2:3]
	v_fmac_f64_e32 v[2:3], s[6:7], v[42:43]
	v_mad_u32_u24 v42, v134, 48, 0
	s_barrier
	ds_write_b128 v42, v[96:99]
	ds_write_b128 v42, v[76:79] offset:16
	ds_write_b128 v42, v[36:39] offset:32
	;; [unrolled: 1-line block ×5, first 2 shown]
	v_mad_u32_u24 v28, v136, 48, 0
	ds_write_b128 v28, v[84:87]
	ds_write_b128 v28, v[80:83] offset:16
	ds_write_b128 v28, v[32:35] offset:32
	v_mad_u32_u24 v28, v138, 48, 0
	ds_write_b128 v28, v[108:111]
	ds_write_b128 v28, v[100:103] offset:16
	ds_write_b128 v28, v[24:27] offset:32
	;; [unrolled: 1-line block ×11, first 2 shown]
	ds_write_b64 v42, v[64:65] offset:36288
	v_add_u32_e32 v12, 0x8dc8, v42
	ds_write2_b64 v12, v[68:69], v[66:67] offset1:1
	v_add_u32_e32 v12, 0x8dd8, v42
	ds_write2_b64 v12, v[56:57], v[8:9] offset1:1
	ds_write_b64 v42, v[10:11] offset:36328
	ds_write_b64 v42, v[58:59] offset:41472
	v_add_u32_e32 v8, 0xa208, v42
	ds_write2_b64 v8, v[62:63], v[60:61] offset1:1
	v_add_u32_e32 v8, 0xa218, v42
	v_add_f64 v[50:51], v[50:51], v[44:45]
	v_add_f64 v[54:55], v[54:55], v[46:47]
	ds_write2_b64 v8, v[48:49], v[4:5] offset1:1
	ds_write_b64 v42, v[6:7] offset:41512
	ds_write_b64 v42, v[50:51] offset:46656
	v_add_u32_e32 v4, 0xb648, v42
	ds_write2_b64 v4, v[54:55], v[52:53] offset1:1
	v_add_u32_e32 v4, 0xb658, v42
	ds_write2_b64 v4, v[40:41], v[0:1] offset1:1
	ds_write_b64 v42, v[2:3] offset:46696
	v_mul_lo_u16_sdwa v0, v134, s8 dst_sel:DWORD dst_unused:UNUSED_PAD src0_sel:BYTE_0 src1_sel:DWORD
	v_lshrrev_b16_e32 v112, 9, v0
	v_mul_lo_u16_e32 v0, 3, v112
	v_sub_u16_e32 v113, v134, v0
	v_lshlrev_b32_sdwa v0, v163, v113 dst_sel:DWORD dst_unused:UNUSED_PAD src0_sel:DWORD src1_sel:BYTE_0
	s_waitcnt lgkmcnt(0)
	s_barrier
	global_load_dwordx4 v[12:15], v0, s[4:5]
	global_load_dwordx4 v[4:7], v0, s[4:5] offset:16
	v_mul_lo_u16_sdwa v0, v164, s8 dst_sel:DWORD dst_unused:UNUSED_PAD src0_sel:BYTE_0 src1_sel:DWORD
	v_lshrrev_b16_e32 v114, 9, v0
	v_mul_lo_u16_e32 v0, 3, v114
	v_sub_u16_e32 v115, v164, v0
	v_lshlrev_b32_sdwa v0, v163, v115 dst_sel:DWORD dst_unused:UNUSED_PAD src0_sel:DWORD src1_sel:BYTE_0
	s_mov_b32 s8, 0xaaab
	global_load_dwordx4 v[32:35], v0, s[4:5]
	global_load_dwordx4 v[24:27], v0, s[4:5] offset:16
	v_mul_u32_u24_sdwa v0, v139, s8 dst_sel:DWORD dst_unused:UNUSED_PAD src0_sel:WORD_0 src1_sel:DWORD
	v_lshrrev_b32_e32 v120, 17, v0
	v_mul_lo_u16_e32 v0, 3, v120
	v_sub_u16_e32 v121, v139, v0
	v_lshlrev_b32_e32 v0, 5, v121
	global_load_dwordx4 v[40:43], v0, s[4:5]
	global_load_dwordx4 v[36:39], v0, s[4:5] offset:16
	v_add_u32_e32 v0, 0x21c, v134
	v_mul_u32_u24_sdwa v1, v0, s8 dst_sel:DWORD dst_unused:UNUSED_PAD src0_sel:WORD_0 src1_sel:DWORD
	v_lshrrev_b32_e32 v122, 17, v1
	v_mul_lo_u16_e32 v1, 3, v122
	v_sub_u16_e32 v123, v0, v1
	v_lshlrev_b32_e32 v0, 5, v123
	global_load_dwordx4 v[48:51], v0, s[4:5]
	global_load_dwordx4 v[44:47], v0, s[4:5] offset:16
	v_add_u32_e32 v0, 0x288, v134
	v_add_u32_e32 v1, 0x2f4, v134
	v_mul_u32_u24_sdwa v2, v0, s8 dst_sel:DWORD dst_unused:UNUSED_PAD src0_sel:WORD_0 src1_sel:DWORD
	v_lshrrev_b32_e32 v126, 17, v2
	v_mul_u32_u24_sdwa v3, v1, s8 dst_sel:DWORD dst_unused:UNUSED_PAD src0_sel:WORD_0 src1_sel:DWORD
	v_mul_lo_u16_e32 v2, 3, v126
	v_lshrrev_b32_e32 v124, 17, v3
	v_sub_u16_e32 v127, v0, v2
	v_mul_lo_u16_e32 v3, 3, v124
	v_lshlrev_b32_e32 v0, 5, v127
	v_sub_u16_e32 v125, v1, v3
	global_load_dwordx4 v[60:63], v0, s[4:5] offset:16
	global_load_dwordx4 v[64:67], v0, s[4:5]
	v_add_u32_e32 v0, 0x360, v134
	v_lshlrev_b32_e32 v1, 5, v125
	ds_read_b128 v[68:71], v160 offset:17280
	global_load_dwordx4 v[98:101], v1, s[4:5] offset:16
	global_load_dwordx4 v[102:105], v1, s[4:5]
	v_mul_u32_u24_sdwa v1, v0, s8 dst_sel:DWORD dst_unused:UNUSED_PAD src0_sel:WORD_0 src1_sel:DWORD
	v_lshrrev_b32_e32 v128, 17, v1
	v_mul_lo_u16_e32 v1, 3, v128
	v_sub_u16_e32 v129, v0, v1
	v_add_u32_e32 v2, 0x3cc, v134
	v_lshlrev_b32_e32 v0, 5, v129
	global_load_dwordx4 v[106:109], v0, s[4:5] offset:16
	global_load_dwordx4 v[116:119], v0, s[4:5]
	v_mul_u32_u24_sdwa v0, v2, s8 dst_sel:DWORD dst_unused:UNUSED_PAD src0_sel:WORD_0 src1_sel:DWORD
	v_lshrrev_b32_e32 v130, 17, v0
	v_mul_lo_u16_e32 v0, 3, v130
	v_sub_u16_e32 v131, v2, v0
	v_lshlrev_b32_e32 v0, 5, v131
	ds_read_b128 v[72:75], v160 offset:19008
	ds_read_b128 v[52:55], v160 offset:20736
	global_load_dwordx4 v[140:143], v0, s[4:5] offset:16
	global_load_dwordx4 v[144:147], v0, s[4:5]
	ds_read_b128 v[76:79], v160 offset:36288
	ds_read_b128 v[56:59], v160 offset:38016
	;; [unrolled: 1-line block ×15, first 2 shown]
	s_waitcnt vmcnt(15) lgkmcnt(14)
	v_mul_f64 v[174:175], v[70:71], v[14:15]
	s_waitcnt vmcnt(14) lgkmcnt(1)
	v_mul_f64 v[178:179], v[168:169], v[6:7]
	v_mul_f64 v[6:7], v[166:167], v[6:7]
	;; [unrolled: 1-line block ×3, first 2 shown]
	v_fmac_f64_e32 v[178:179], v[166:167], v[4:5]
	v_fma_f64 v[166:167], v[168:169], v[4:5], -v[6:7]
	v_fmac_f64_e32 v[174:175], v[68:69], v[12:13]
	s_waitcnt vmcnt(13)
	v_mul_f64 v[168:169], v[74:75], v[34:35]
	s_waitcnt vmcnt(12)
	v_mul_f64 v[182:183], v[78:79], v[26:27]
	v_mul_f64 v[26:27], v[76:77], v[26:27]
	;; [unrolled: 1-line block ×3, first 2 shown]
	v_fmac_f64_e32 v[182:183], v[76:77], v[24:25]
	v_fma_f64 v[184:185], v[78:79], v[24:25], -v[26:27]
	s_waitcnt vmcnt(11)
	v_mul_f64 v[80:81], v[84:85], v[42:43]
	v_mul_f64 v[24:25], v[82:83], v[42:43]
	v_fma_f64 v[176:177], v[70:71], v[12:13], -v[14:15]
	v_fmac_f64_e32 v[168:169], v[72:73], v[32:33]
	v_fma_f64 v[180:181], v[74:75], v[32:33], -v[4:5]
	ds_read_b128 v[12:15], v160 offset:12096
	ds_read_b128 v[4:7], v160 offset:13824
	v_fmac_f64_e32 v[80:81], v[82:83], v[40:41]
	v_fma_f64 v[84:85], v[84:85], v[40:41], -v[24:25]
	ds_read_b128 v[24:27], v160 offset:29376
	ds_read_b128 v[40:43], v160 offset:31104
	s_waitcnt vmcnt(10)
	v_mul_f64 v[32:33], v[88:89], v[38:39]
	v_mul_f64 v[86:87], v[90:91], v[38:39]
	v_fma_f64 v[90:91], v[90:91], v[36:37], -v[32:33]
	s_waitcnt vmcnt(9)
	v_mul_f64 v[72:73], v[94:95], v[50:51]
	v_mul_f64 v[32:33], v[92:93], v[50:51]
	v_fmac_f64_e32 v[86:87], v[88:89], v[36:37]
	v_fmac_f64_e32 v[72:73], v[92:93], v[48:49]
	v_fma_f64 v[92:93], v[94:95], v[48:49], -v[32:33]
	ds_read_b128 v[36:39], v160 offset:46656
	ds_read_b128 v[48:51], v160 offset:48384
	s_waitcnt vmcnt(8)
	v_mul_f64 v[32:33], v[152:153], v[46:47]
	v_fma_f64 v[96:97], v[154:155], v[44:45], -v[32:33]
	s_waitcnt vmcnt(6)
	v_mul_f64 v[68:69], v[150:151], v[66:67]
	v_mul_f64 v[32:33], v[148:149], v[66:67]
	;; [unrolled: 1-line block ×3, first 2 shown]
	v_fmac_f64_e32 v[68:69], v[148:149], v[64:65]
	v_fma_f64 v[76:77], v[150:151], v[64:65], -v[32:33]
	s_waitcnt vmcnt(4) lgkmcnt(3)
	v_mul_f64 v[64:65], v[26:27], v[104:105]
	v_fmac_f64_e32 v[82:83], v[152:153], v[44:45]
	ds_read_b128 v[32:35], v160
	ds_read_b128 v[44:47], v160 offset:50112
	v_fmac_f64_e32 v[64:65], v[24:25], v[102:103]
	v_mul_f64 v[24:25], v[24:25], v[104:105]
	v_fma_f64 v[74:75], v[26:27], v[102:103], -v[24:25]
	s_waitcnt lgkmcnt(3)
	v_mul_f64 v[24:25], v[36:37], v[100:101]
	v_fma_f64 v[110:111], v[38:39], v[98:99], -v[24:25]
	s_waitcnt vmcnt(2)
	v_mul_f64 v[24:25], v[40:41], v[118:119]
	v_mul_f64 v[78:79], v[158:159], v[62:63]
	;; [unrolled: 1-line block ×3, first 2 shown]
	v_fma_f64 v[66:67], v[42:43], v[116:117], -v[24:25]
	s_waitcnt lgkmcnt(2)
	v_mul_f64 v[24:25], v[48:49], v[108:109]
	v_fma_f64 v[94:95], v[158:159], v[60:61], -v[62:63]
	v_mul_f64 v[62:63], v[50:51], v[108:109]
	v_fma_f64 v[108:109], v[50:51], v[106:107], -v[24:25]
	s_waitcnt vmcnt(0)
	v_mul_f64 v[24:25], v[170:171], v[146:147]
	v_mul_f64 v[70:71], v[38:39], v[100:101]
	v_fma_f64 v[100:101], v[172:173], v[144:145], -v[24:25]
	s_waitcnt lgkmcnt(0)
	v_mul_f64 v[24:25], v[44:45], v[142:143]
	v_fma_f64 v[102:103], v[46:47], v[140:141], -v[24:25]
	v_add_f64 v[24:25], v[32:33], v[174:175]
	v_fmac_f64_e32 v[62:63], v[48:49], v[106:107]
	v_add_f64 v[48:49], v[24:25], v[178:179]
	v_add_f64 v[24:25], v[174:175], v[178:179]
	v_mul_f64 v[106:107], v[46:47], v[142:143]
	v_fmac_f64_e32 v[32:33], -0.5, v[24:25]
	v_add_f64 v[24:25], v[176:177], -v[166:167]
	v_fmac_f64_e32 v[106:107], v[44:45], v[140:141]
	v_fma_f64 v[44:45], s[6:7], v[24:25], v[32:33]
	v_fmac_f64_e32 v[32:33], s[2:3], v[24:25]
	v_add_f64 v[24:25], v[34:35], v[176:177]
	v_add_f64 v[50:51], v[24:25], v[166:167]
	;; [unrolled: 1-line block ×3, first 2 shown]
	v_fmac_f64_e32 v[34:35], -0.5, v[24:25]
	v_add_f64 v[24:25], v[174:175], -v[178:179]
	v_fmac_f64_e32 v[78:79], v[156:157], v[60:61]
	v_mul_f64 v[60:61], v[42:43], v[118:119]
	v_fma_f64 v[46:47], s[2:3], v[24:25], v[34:35]
	v_fmac_f64_e32 v[34:35], s[6:7], v[24:25]
	v_add_f64 v[24:25], v[28:29], v[168:169]
	v_fmac_f64_e32 v[60:61], v[40:41], v[116:117]
	v_add_f64 v[40:41], v[24:25], v[182:183]
	v_add_f64 v[24:25], v[168:169], v[182:183]
	v_fmac_f64_e32 v[28:29], -0.5, v[24:25]
	v_add_f64 v[24:25], v[180:181], -v[184:185]
	v_mul_u32_u24_sdwa v88, v136, s8 dst_sel:DWORD dst_unused:UNUSED_PAD src0_sel:WORD_0 src1_sel:DWORD
	v_fmac_f64_e32 v[70:71], v[36:37], v[98:99]
	v_fma_f64 v[36:37], s[6:7], v[24:25], v[28:29]
	v_fmac_f64_e32 v[28:29], s[2:3], v[24:25]
	v_add_f64 v[24:25], v[30:31], v[180:181]
	v_lshrrev_b32_e32 v141, 17, v88
	v_add_f64 v[42:43], v[24:25], v[184:185]
	v_add_f64 v[24:25], v[180:181], v[184:185]
	v_mul_lo_u16_e32 v88, 3, v141
	v_fmac_f64_e32 v[30:31], -0.5, v[24:25]
	v_add_f64 v[24:25], v[168:169], -v[182:183]
	v_add_f64 v[26:27], v[80:81], v[86:87]
	v_sub_u16_e32 v165, v136, v88
	v_mul_f64 v[104:105], v[172:173], v[146:147]
	v_fma_f64 v[38:39], s[2:3], v[24:25], v[30:31]
	v_fmac_f64_e32 v[30:31], s[6:7], v[24:25]
	v_add_f64 v[24:25], v[20:21], v[80:81]
	v_lshlrev_b32_e32 v88, 5, v165
	v_fmac_f64_e32 v[20:21], -0.5, v[26:27]
	v_add_f64 v[26:27], v[84:85], -v[90:91]
	v_fmac_f64_e32 v[104:105], v[170:171], v[144:145]
	global_load_dwordx4 v[116:119], v88, s[4:5] offset:16
	global_load_dwordx4 v[142:145], v88, s[4:5]
	v_fma_f64 v[88:89], s[6:7], v[26:27], v[20:21]
	v_fmac_f64_e32 v[20:21], s[2:3], v[26:27]
	v_add_f64 v[26:27], v[22:23], v[84:85]
	v_add_f64 v[84:85], v[84:85], v[90:91]
	v_fmac_f64_e32 v[22:23], -0.5, v[84:85]
	v_add_f64 v[80:81], v[80:81], -v[86:87]
	v_add_f64 v[26:27], v[26:27], v[90:91]
	v_fma_f64 v[90:91], s[2:3], v[80:81], v[22:23]
	v_fmac_f64_e32 v[22:23], s[6:7], v[80:81]
	v_add_f64 v[80:81], v[16:17], v[72:73]
	v_add_f64 v[84:85], v[80:81], v[82:83]
	;; [unrolled: 1-line block ×4, first 2 shown]
	v_fmac_f64_e32 v[16:17], -0.5, v[80:81]
	v_add_f64 v[86:87], v[92:93], -v[96:97]
	v_fma_f64 v[80:81], s[6:7], v[86:87], v[16:17]
	v_fmac_f64_e32 v[16:17], s[2:3], v[86:87]
	v_add_f64 v[86:87], v[18:19], v[92:93]
	v_add_f64 v[92:93], v[92:93], v[96:97]
	v_fmac_f64_e32 v[18:19], -0.5, v[92:93]
	v_mul_u32_u24_sdwa v92, v138, s8 dst_sel:DWORD dst_unused:UNUSED_PAD src0_sel:WORD_0 src1_sel:DWORD
	v_lshrrev_b32_e32 v168, 17, v92
	v_mul_lo_u16_e32 v92, 3, v168
	v_sub_u16_e32 v140, v138, v92
	v_lshlrev_b32_e32 v92, 5, v140
	global_load_dwordx4 v[146:149], v92, s[4:5] offset:16
	global_load_dwordx4 v[150:153], v92, s[4:5]
	v_add_f64 v[72:73], v[72:73], -v[82:83]
	v_fma_f64 v[82:83], s[2:3], v[72:73], v[18:19]
	v_fmac_f64_e32 v[18:19], s[6:7], v[72:73]
	v_add_f64 v[72:73], v[8:9], v[68:69]
	v_add_f64 v[86:87], v[86:87], v[96:97]
	;; [unrolled: 1-line block ×4, first 2 shown]
	v_fmac_f64_e32 v[8:9], -0.5, v[72:73]
	v_add_f64 v[72:73], v[76:77], -v[94:95]
	v_fma_f64 v[92:93], s[6:7], v[72:73], v[8:9]
	v_fmac_f64_e32 v[8:9], s[2:3], v[72:73]
	v_add_f64 v[72:73], v[10:11], v[76:77]
	v_add_f64 v[98:99], v[72:73], v[94:95]
	v_add_f64 v[72:73], v[76:77], v[94:95]
	v_fmac_f64_e32 v[10:11], -0.5, v[72:73]
	v_add_f64 v[68:69], v[68:69], -v[78:79]
	v_fma_f64 v[94:95], s[2:3], v[68:69], v[10:11]
	v_fmac_f64_e32 v[10:11], s[6:7], v[68:69]
	v_add_f64 v[68:69], v[12:13], v[64:65]
	v_add_f64 v[76:77], v[68:69], v[70:71]
	v_add_f64 v[68:69], v[64:65], v[70:71]
	;; [unrolled: 7-line block ×4, first 2 shown]
	v_fmac_f64_e32 v[4:5], -0.5, v[64:65]
	v_add_f64 v[70:71], v[66:67], -v[108:109]
	v_fma_f64 v[64:65], s[6:7], v[70:71], v[4:5]
	v_fmac_f64_e32 v[4:5], s[2:3], v[70:71]
	v_add_f64 v[70:71], v[6:7], v[66:67]
	v_add_f64 v[66:67], v[66:67], v[108:109]
	v_fmac_f64_e32 v[6:7], -0.5, v[66:67]
	v_add_f64 v[60:61], v[60:61], -v[62:63]
	v_add_f64 v[62:63], v[104:105], v[106:107]
	v_fma_f64 v[66:67], s[2:3], v[60:61], v[6:7]
	v_fmac_f64_e32 v[6:7], s[6:7], v[60:61]
	v_add_f64 v[60:61], v[0:1], v[104:105]
	v_fmac_f64_e32 v[0:1], -0.5, v[62:63]
	ds_read_b128 v[154:157], v160 offset:22464
	v_add_f64 v[70:71], v[70:71], v[108:109]
	ds_read_b128 v[108:111], v160 offset:39744
	v_add_f64 v[104:105], v[104:105], -v[106:107]
	v_add_f64 v[60:61], v[60:61], v[106:107]
	s_waitcnt vmcnt(2)
	v_mul_f64 v[158:159], v[54:55], v[144:145]
	v_fmac_f64_e32 v[158:159], v[52:53], v[142:143]
	v_mul_f64 v[52:53], v[52:53], v[144:145]
	v_fma_f64 v[142:143], v[54:55], v[142:143], -v[52:53]
	v_add_f64 v[54:55], v[100:101], -v[102:103]
	v_fma_f64 v[52:53], s[6:7], v[54:55], v[0:1]
	v_fmac_f64_e32 v[0:1], s[2:3], v[54:55]
	v_add_f64 v[54:55], v[2:3], v[100:101]
	v_add_f64 v[62:63], v[54:55], v[102:103]
	;; [unrolled: 1-line block ×3, first 2 shown]
	v_fmac_f64_e32 v[2:3], -0.5, v[54:55]
	v_mul_f64 v[144:145], v[58:59], v[118:119]
	v_mul_f64 v[54:55], v[56:57], v[118:119]
	v_fmac_f64_e32 v[144:145], v[56:57], v[116:117]
	v_fma_f64 v[166:167], v[58:59], v[116:117], -v[54:55]
	ds_read_b128 v[100:103], v161
	ds_read_b128 v[56:59], v135
	v_fma_f64 v[54:55], s[2:3], v[104:105], v[2:3]
	v_fmac_f64_e32 v[2:3], s[6:7], v[104:105]
	v_mul_u32_u24_e32 v104, 0x90, v112
	v_lshlrev_b32_sdwa v105, v162, v113 dst_sel:DWORD dst_unused:UNUSED_PAD src0_sel:DWORD src1_sel:BYTE_0
	v_add3_u32 v169, 0, v104, v105
	v_mul_u32_u24_e32 v104, 0x90, v114
	v_lshlrev_b32_sdwa v105, v162, v115 dst_sel:DWORD dst_unused:UNUSED_PAD src0_sel:DWORD src1_sel:BYTE_0
	v_add3_u32 v170, 0, v104, v105
	s_movk_i32 s8, 0x90
	s_waitcnt vmcnt(0) lgkmcnt(0)
	v_mul_f64 v[106:107], v[156:157], v[152:153]
	v_mul_f64 v[104:105], v[154:155], v[152:153]
	v_fmac_f64_e32 v[106:107], v[154:155], v[150:151]
	v_fma_f64 v[150:151], v[156:157], v[150:151], -v[104:105]
	v_mul_f64 v[152:153], v[110:111], v[148:149]
	v_mul_f64 v[104:105], v[108:109], v[148:149]
	v_fmac_f64_e32 v[152:153], v[108:109], v[146:147]
	v_fma_f64 v[146:147], v[110:111], v[146:147], -v[104:105]
	v_add_f64 v[104:105], v[100:101], v[158:159]
	v_add_f64 v[116:117], v[104:105], v[144:145]
	;; [unrolled: 1-line block ×3, first 2 shown]
	v_fmac_f64_e32 v[100:101], -0.5, v[104:105]
	v_add_f64 v[104:105], v[142:143], -v[166:167]
	v_fma_f64 v[112:113], s[6:7], v[104:105], v[100:101]
	v_fmac_f64_e32 v[100:101], s[2:3], v[104:105]
	v_add_f64 v[104:105], v[102:103], v[142:143]
	v_add_f64 v[118:119], v[104:105], v[166:167]
	;; [unrolled: 1-line block ×3, first 2 shown]
	v_fmac_f64_e32 v[102:103], -0.5, v[104:105]
	v_add_f64 v[104:105], v[158:159], -v[144:145]
	s_barrier
	ds_write_b128 v169, v[48:51]
	ds_write_b128 v169, v[44:47] offset:48
	ds_write_b128 v169, v[32:35] offset:96
	ds_write_b128 v170, v[40:43]
	ds_write_b128 v170, v[36:39] offset:48
	ds_write_b128 v170, v[28:31] offset:96
	v_perm_b32 v28, v168, v141, s9
	v_fma_f64 v[114:115], s[2:3], v[104:105], v[102:103]
	v_fmac_f64_e32 v[102:103], s[6:7], v[104:105]
	v_add_f64 v[104:105], v[56:57], v[106:107]
	v_pk_mul_lo_u16 v28, v28, s8 op_sel_hi:[1,0]
	v_add_f64 v[108:109], v[104:105], v[152:153]
	v_add_f64 v[104:105], v[106:107], v[152:153]
	v_and_b32_e32 v29, 0xfff0, v28
	v_lshlrev_b32_e32 v30, 4, v165
	v_fmac_f64_e32 v[56:57], -0.5, v[104:105]
	v_add_f64 v[110:111], v[150:151], -v[146:147]
	v_add3_u32 v29, 0, v29, v30
	v_fma_f64 v[104:105], s[6:7], v[110:111], v[56:57]
	v_fmac_f64_e32 v[56:57], s[2:3], v[110:111]
	v_add_f64 v[110:111], v[58:59], v[150:151]
	v_add_f64 v[142:143], v[150:151], v[146:147]
	ds_write_b128 v29, v[116:119]
	ds_write_b128 v29, v[112:115] offset:48
	ds_write_b128 v29, v[100:103] offset:96
	v_lshrrev_b32_e32 v28, 16, v28
	v_lshlrev_b32_e32 v29, 4, v140
	v_add_f64 v[110:111], v[110:111], v[146:147]
	v_fmac_f64_e32 v[58:59], -0.5, v[142:143]
	v_add_f64 v[142:143], v[106:107], -v[152:153]
	v_add3_u32 v28, 0, v28, v29
	v_fma_f64 v[106:107], s[2:3], v[142:143], v[58:59]
	v_fmac_f64_e32 v[58:59], s[6:7], v[142:143]
	ds_write_b128 v28, v[108:111]
	ds_write_b128 v28, v[104:107] offset:48
	ds_write_b128 v28, v[56:59] offset:96
	v_mul_u32_u24_e32 v28, 0x90, v120
	v_lshlrev_b32_e32 v29, 4, v121
	v_add3_u32 v28, 0, v28, v29
	ds_write_b128 v28, v[24:27]
	ds_write_b128 v28, v[88:91] offset:48
	ds_write_b128 v28, v[20:23] offset:96
	v_mul_u32_u24_e32 v20, 0x90, v122
	v_lshlrev_b32_e32 v21, 4, v123
	v_add3_u32 v20, 0, v20, v21
	;; [unrolled: 6-line block ×6, first 2 shown]
	ds_write_b128 v4, v[60:63]
	ds_write_b128 v4, v[52:55] offset:48
	ds_write_b128 v4, v[0:3] offset:96
	v_mov_b32_e32 v0, 57
	v_mul_lo_u16_sdwa v1, v134, v0 dst_sel:DWORD dst_unused:UNUSED_PAD src0_sel:BYTE_0 src1_sel:DWORD
	v_lshrrev_b16_e32 v167, 9, v1
	v_mul_lo_u16_e32 v1, 9, v167
	v_sub_u16_e32 v168, v134, v1
	v_mov_b32_e32 v1, 9
	v_mul_u32_u24_sdwa v2, v168, v1 dst_sel:DWORD dst_unused:UNUSED_PAD src0_sel:BYTE_0 src1_sel:DWORD
	v_lshlrev_b32_e32 v2, 4, v2
	s_waitcnt lgkmcnt(0)
	s_barrier
	global_load_dwordx4 v[56:59], v2, s[4:5] offset:96
	global_load_dwordx4 v[48:51], v2, s[4:5] offset:112
	;; [unrolled: 1-line block ×8, first 2 shown]
	v_mul_lo_u16_sdwa v0, v164, v0 dst_sel:DWORD dst_unused:UNUSED_PAD src0_sel:BYTE_0 src1_sel:DWORD
	v_lshrrev_b16_e32 v165, 9, v0
	v_mul_lo_u16_e32 v0, 9, v165
	global_load_dwordx4 v[44:47], v2, s[4:5] offset:224
	v_sub_u16_e32 v166, v164, v0
	v_mul_u32_u24_sdwa v0, v166, v1 dst_sel:DWORD dst_unused:UNUSED_PAD src0_sel:BYTE_0 src1_sel:DWORD
	v_lshlrev_b32_e32 v108, 4, v0
	global_load_dwordx4 v[80:83], v108, s[4:5] offset:96
	global_load_dwordx4 v[64:67], v108, s[4:5] offset:128
	;; [unrolled: 1-line block ×3, first 2 shown]
	ds_read_b128 v[84:87], v160 offset:6912
	ds_read_b128 v[100:103], v160 offset:15552
	;; [unrolled: 1-line block ×8, first 2 shown]
	global_load_dwordx4 v[72:75], v108, s[4:5] offset:144
	ds_read_b128 v[88:91], v160 offset:46656
	ds_read_b128 v[12:15], v160 offset:48384
	ds_read_b128 v[104:107], v135
	ds_read_b128 v[0:3], v161
	global_load_dwordx4 v[110:113], v108, s[4:5] offset:160
	s_mov_b32 s8, 0xe38f
	ds_read_b128 v[114:117], v160 offset:10368
	ds_read_b128 v[40:43], v160 offset:8640
	;; [unrolled: 1-line block ×4, first 2 shown]
	global_load_dwordx4 v[172:175], v108, s[4:5] offset:192
	global_load_dwordx4 v[176:179], v108, s[4:5] offset:176
	s_mov_b32 s9, 0x3fe2cf23
	s_waitcnt vmcnt(15) lgkmcnt(5)
	v_mul_f64 v[124:125], v[106:107], v[58:59]
	v_mul_f64 v[58:59], v[104:105], v[58:59]
	v_fmac_f64_e32 v[124:125], v[104:105], v[56:57]
	v_fma_f64 v[126:127], v[106:107], v[56:57], -v[58:59]
	v_mul_u32_u24_sdwa v56, v136, s8 dst_sel:DWORD dst_unused:UNUSED_PAD src0_sel:WORD_0 src1_sel:DWORD
	v_lshrrev_b32_e32 v169, 19, v56
	v_mul_lo_u16_e32 v56, 9, v169
	s_waitcnt vmcnt(14) lgkmcnt(3)
	v_mul_f64 v[144:145], v[116:117], v[50:51]
	v_mul_f64 v[50:51], v[114:115], v[50:51]
	v_sub_u16_e32 v170, v136, v56
	v_fmac_f64_e32 v[144:145], v[114:115], v[48:49]
	v_fma_f64 v[140:141], v[116:117], v[48:49], -v[50:51]
	global_load_dwordx4 v[48:51], v108, s[4:5] offset:208
	global_load_dwordx4 v[104:107], v108, s[4:5] offset:224
	v_mul_u32_u24_e32 v56, 9, v170
	v_lshlrev_b32_e32 v171, 4, v56
	global_load_dwordx4 v[56:59], v171, s[4:5] offset:112
	global_load_dwordx4 v[114:117], v171, s[4:5] offset:96
	ds_read_b128 v[146:149], v160 offset:20736
	s_waitcnt vmcnt(17)
	v_mul_f64 v[130:131], v[102:103], v[10:11]
	v_mul_f64 v[10:11], v[100:101], v[10:11]
	v_fmac_f64_e32 v[130:131], v[100:101], v[8:9]
	v_fma_f64 v[142:143], v[102:103], v[8:9], -v[10:11]
	ds_read_b128 v[8:11], v160 offset:19008
	s_waitcnt vmcnt(16) lgkmcnt(1)
	v_mul_f64 v[154:155], v[148:149], v[6:7]
	v_mul_f64 v[6:7], v[146:147], v[6:7]
	ds_read_b128 v[100:103], v160 offset:31104
	v_fmac_f64_e32 v[154:155], v[146:147], v[4:5]
	v_fma_f64 v[148:149], v[148:149], v[4:5], -v[6:7]
	s_waitcnt vmcnt(15)
	v_mul_f64 v[146:147], v[98:99], v[34:35]
	v_mul_f64 v[4:5], v[96:97], v[34:35]
	v_fmac_f64_e32 v[146:147], v[96:97], v[32:33]
	v_fma_f64 v[32:33], v[98:99], v[32:33], -v[4:5]
	ds_read_b128 v[4:7], v160 offset:29376
	ds_read_b128 v[96:99], v160 offset:41472
	s_waitcnt vmcnt(14) lgkmcnt(2)
	v_mul_f64 v[156:157], v[102:103], v[30:31]
	v_mul_f64 v[30:31], v[100:101], v[30:31]
	v_fma_f64 v[150:151], v[102:103], v[28:29], -v[30:31]
	s_waitcnt vmcnt(13)
	v_mul_f64 v[30:31], v[94:95], v[26:27]
	v_mul_f64 v[26:27], v[92:93], v[26:27]
	v_fmac_f64_e32 v[156:157], v[100:101], v[28:29]
	v_fmac_f64_e32 v[30:31], v[92:93], v[24:25]
	v_fma_f64 v[28:29], v[94:95], v[24:25], -v[26:27]
	ds_read_b128 v[24:27], v160 offset:39744
	s_waitcnt vmcnt(12) lgkmcnt(1)
	v_mul_f64 v[158:159], v[98:99], v[22:23]
	v_mul_f64 v[22:23], v[96:97], v[22:23]
	v_fmac_f64_e32 v[158:159], v[96:97], v[20:21]
	v_fma_f64 v[152:153], v[98:99], v[20:21], -v[22:23]
	s_waitcnt vmcnt(11)
	v_mul_f64 v[22:23], v[90:91], v[46:47]
	v_mul_f64 v[20:21], v[88:89], v[46:47]
	v_fmac_f64_e32 v[22:23], v[88:89], v[44:45]
	v_fma_f64 v[20:21], v[90:91], v[44:45], -v[20:21]
	ds_read_b128 v[88:91], v160 offset:22464
	ds_read_b128 v[94:97], v160 offset:24192
	s_waitcnt vmcnt(10)
	v_mul_f64 v[108:109], v[86:87], v[82:83]
	v_mul_f64 v[34:35], v[84:85], v[82:83]
	v_fmac_f64_e32 v[108:109], v[84:85], v[80:81]
	v_fma_f64 v[80:81], v[86:87], v[80:81], -v[34:35]
	s_waitcnt vmcnt(8)
	v_mul_f64 v[128:129], v[120:121], v[78:79]
	v_mul_f64 v[34:35], v[118:119], v[78:79]
	v_fmac_f64_e32 v[128:129], v[118:119], v[76:77]
	v_fma_f64 v[122:123], v[120:121], v[76:77], -v[34:35]
	ds_read_b128 v[76:79], v160 offset:32832
	ds_read_b128 v[180:183], v160 offset:34560
	v_mul_f64 v[34:35], v[68:69], v[66:67]
	v_mul_f64 v[82:83], v[70:71], v[66:67]
	v_fma_f64 v[44:45], v[70:71], v[64:65], -v[34:35]
	s_waitcnt vmcnt(7) lgkmcnt(3)
	v_mul_f64 v[34:35], v[88:89], v[74:75]
	v_fmac_f64_e32 v[82:83], v[68:69], v[64:65]
	v_mul_f64 v[68:69], v[90:91], v[74:75]
	v_fma_f64 v[66:67], v[90:91], v[72:73], -v[34:35]
	s_waitcnt vmcnt(6)
	v_mul_f64 v[64:65], v[62:63], v[112:113]
	v_mul_f64 v[34:35], v[60:61], v[112:113]
	v_fmac_f64_e32 v[68:69], v[88:89], v[72:73]
	v_fmac_f64_e32 v[64:65], v[60:61], v[110:111]
	v_fma_f64 v[46:47], v[62:63], v[110:111], -v[34:35]
	global_load_dwordx4 v[86:89], v171, s[4:5] offset:144
	global_load_dwordx4 v[110:113], v171, s[4:5] offset:128
	s_waitcnt vmcnt(6) lgkmcnt(1)
	v_mul_f64 v[34:35], v[76:77], v[178:179]
	v_fma_f64 v[62:63], v[78:79], v[176:177], -v[34:35]
	v_mul_f64 v[60:61], v[54:55], v[174:175]
	v_mul_f64 v[34:35], v[52:53], v[174:175]
	v_fmac_f64_e32 v[60:61], v[52:53], v[172:173]
	v_fma_f64 v[52:53], v[54:55], v[172:173], -v[34:35]
	global_load_dwordx4 v[172:175], v171, s[4:5] offset:176
	global_load_dwordx4 v[118:121], v171, s[4:5] offset:160
	v_mul_f64 v[70:71], v[78:79], v[178:179]
	v_fmac_f64_e32 v[70:71], v[76:77], v[176:177]
	ds_read_b128 v[176:179], v160 offset:44928
	ds_read_b128 v[76:79], v160 offset:1728
	s_mov_b32 s8, s14
	s_waitcnt vmcnt(7)
	v_mul_f64 v[72:73], v[18:19], v[50:51]
	v_fmac_f64_e32 v[72:73], v[16:17], v[48:49]
	v_mul_f64 v[16:17], v[16:17], v[50:51]
	s_waitcnt vmcnt(6)
	v_mul_f64 v[50:51], v[14:15], v[106:107]
	v_fma_f64 v[54:55], v[18:19], v[48:49], -v[16:17]
	v_fmac_f64_e32 v[50:51], v[12:13], v[104:105]
	global_load_dwordx4 v[16:19], v171, s[4:5] offset:192
	v_mul_f64 v[12:13], v[12:13], v[106:107]
	v_fma_f64 v[48:49], v[14:15], v[104:105], -v[12:13]
	global_load_dwordx4 v[12:15], v171, s[4:5] offset:208
	s_waitcnt vmcnt(6)
	v_mul_f64 v[98:99], v[42:43], v[116:117]
	v_mul_f64 v[34:35], v[40:41], v[116:117]
	v_fmac_f64_e32 v[98:99], v[40:41], v[114:115]
	v_fma_f64 v[102:103], v[42:43], v[114:115], -v[34:35]
	global_load_dwordx4 v[40:43], v171, s[4:5] offset:224
	v_mul_f64 v[114:115], v[38:39], v[58:59]
	v_mul_f64 v[34:35], v[36:37], v[58:59]
	v_fmac_f64_e32 v[114:115], v[36:37], v[56:57]
	v_fma_f64 v[104:105], v[38:39], v[56:57], -v[34:35]
	s_waitcnt vmcnt(6)
	v_mul_f64 v[116:117], v[96:97], v[88:89]
	s_waitcnt vmcnt(5)
	v_mul_f64 v[92:93], v[10:11], v[112:113]
	v_fmac_f64_e32 v[92:93], v[8:9], v[110:111]
	v_mul_f64 v[8:9], v[8:9], v[112:113]
	v_fma_f64 v[84:85], v[10:11], v[110:111], -v[8:9]
	v_mul_f64 v[8:9], v[94:95], v[88:89]
	v_fmac_f64_e32 v[116:117], v[94:95], v[86:87]
	v_fma_f64 v[106:107], v[96:97], v[86:87], -v[8:9]
	ds_read_b128 v[36:39], v160
	ds_read_b128 v[8:11], v160 offset:50112
	s_waitcnt vmcnt(3)
	v_mul_f64 v[94:95], v[6:7], v[120:121]
	v_fmac_f64_e32 v[94:95], v[4:5], v[118:119]
	v_mul_f64 v[4:5], v[4:5], v[120:121]
	v_fma_f64 v[86:87], v[6:7], v[118:119], -v[4:5]
	s_waitcnt lgkmcnt(4)
	v_mul_f64 v[4:5], v[180:181], v[174:175]
	v_fma_f64 v[110:111], v[182:183], v[172:173], -v[4:5]
	v_add_f64 v[6:7], v[148:149], -v[150:151]
	v_mul_f64 v[118:119], v[182:183], v[174:175]
	v_fmac_f64_e32 v[118:119], v[180:181], v[172:173]
	s_waitcnt lgkmcnt(0)
	s_barrier
	s_waitcnt vmcnt(2)
	v_mul_f64 v[4:5], v[24:25], v[18:19]
	v_fma_f64 v[88:89], v[26:27], v[16:17], -v[4:5]
	v_mul_f64 v[96:97], v[26:27], v[18:19]
	s_waitcnt vmcnt(1)
	v_mul_f64 v[4:5], v[176:177], v[14:15]
	v_fma_f64 v[112:113], v[178:179], v[12:13], -v[4:5]
	v_fmac_f64_e32 v[96:97], v[24:25], v[16:17]
	v_mul_f64 v[120:121], v[178:179], v[14:15]
	v_fmac_f64_e32 v[120:121], v[176:177], v[12:13]
	s_waitcnt vmcnt(0)
	v_mul_f64 v[4:5], v[8:9], v[42:43]
	v_fma_f64 v[90:91], v[10:11], v[40:41], -v[4:5]
	v_add_f64 v[4:5], v[36:37], v[144:145]
	v_add_f64 v[4:5], v[4:5], v[154:155]
	;; [unrolled: 1-line block ×5, first 2 shown]
	v_mul_f64 v[100:101], v[10:11], v[42:43]
	v_fma_f64 v[26:27], -0.5, v[4:5], v[36:37]
	v_add_f64 v[4:5], v[140:141], -v[152:153]
	v_fmac_f64_e32 v[100:101], v[8:9], v[40:41]
	v_fma_f64 v[34:35], s[16:17], v[4:5], v[26:27]
	v_add_f64 v[8:9], v[144:145], -v[154:155]
	v_add_f64 v[10:11], v[158:159], -v[156:157]
	v_fmac_f64_e32 v[26:27], s[10:11], v[4:5]
	v_fmac_f64_e32 v[34:35], s[14:15], v[6:7]
	v_add_f64 v[8:9], v[8:9], v[10:11]
	v_fmac_f64_e32 v[26:27], s[8:9], v[6:7]
	v_fmac_f64_e32 v[34:35], s[12:13], v[8:9]
	v_fmac_f64_e32 v[26:27], s[12:13], v[8:9]
	v_add_f64 v[8:9], v[144:145], v[158:159]
	v_fmac_f64_e32 v[36:37], -0.5, v[8:9]
	v_fma_f64 v[40:41], s[10:11], v[6:7], v[36:37]
	v_fmac_f64_e32 v[36:37], s[16:17], v[6:7]
	v_fmac_f64_e32 v[40:41], s[14:15], v[4:5]
	v_fmac_f64_e32 v[36:37], s[8:9], v[4:5]
	v_add_f64 v[4:5], v[38:39], v[140:141]
	v_add_f64 v[4:5], v[4:5], v[148:149]
	v_add_f64 v[4:5], v[4:5], v[150:151]
	v_add_f64 v[8:9], v[154:155], -v[144:145]
	v_add_f64 v[10:11], v[156:157], -v[158:159]
	v_add_f64 v[42:43], v[4:5], v[152:153]
	v_add_f64 v[4:5], v[148:149], v[150:151]
	v_add_f64 v[8:9], v[8:9], v[10:11]
	v_fma_f64 v[56:57], -0.5, v[4:5], v[38:39]
	v_add_f64 v[4:5], v[144:145], -v[158:159]
	v_fmac_f64_e32 v[40:41], s[12:13], v[8:9]
	v_fmac_f64_e32 v[36:37], s[12:13], v[8:9]
	v_fma_f64 v[58:59], s[10:11], v[4:5], v[56:57]
	v_add_f64 v[6:7], v[154:155], -v[156:157]
	v_add_f64 v[8:9], v[140:141], -v[148:149]
	v_add_f64 v[10:11], v[152:153], -v[150:151]
	v_fmac_f64_e32 v[56:57], s[16:17], v[4:5]
	v_fmac_f64_e32 v[58:59], s[8:9], v[6:7]
	v_add_f64 v[8:9], v[8:9], v[10:11]
	v_fmac_f64_e32 v[56:57], s[14:15], v[6:7]
	v_fmac_f64_e32 v[58:59], s[12:13], v[8:9]
	v_fmac_f64_e32 v[56:57], s[12:13], v[8:9]
	v_add_f64 v[8:9], v[140:141], v[152:153]
	v_fmac_f64_e32 v[38:39], -0.5, v[8:9]
	v_fma_f64 v[74:75], s[16:17], v[6:7], v[38:39]
	v_fmac_f64_e32 v[38:39], s[10:11], v[6:7]
	v_fmac_f64_e32 v[74:75], s[8:9], v[4:5]
	v_fmac_f64_e32 v[38:39], s[14:15], v[4:5]
	v_add_f64 v[4:5], v[124:125], v[130:131]
	v_add_f64 v[4:5], v[4:5], v[146:147]
	v_add_f64 v[4:5], v[4:5], v[30:31]
	v_add_f64 v[8:9], v[148:149], -v[140:141]
	v_add_f64 v[10:11], v[150:151], -v[152:153]
	v_add_f64 v[140:141], v[4:5], v[22:23]
	v_add_f64 v[4:5], v[146:147], v[30:31]
	v_add_f64 v[8:9], v[8:9], v[10:11]
	v_fma_f64 v[144:145], -0.5, v[4:5], v[124:125]
	v_add_f64 v[4:5], v[142:143], -v[20:21]
	v_fmac_f64_e32 v[74:75], s[12:13], v[8:9]
	v_fmac_f64_e32 v[38:39], s[12:13], v[8:9]
	v_fma_f64 v[6:7], s[16:17], v[4:5], v[144:145]
	v_add_f64 v[8:9], v[32:33], -v[28:29]
	;; [unrolled: 28-line block ×3, first 2 shown]
	v_add_f64 v[12:13], v[142:143], -v[32:33]
	v_add_f64 v[16:17], v[20:21], -v[28:29]
	v_fmac_f64_e32 v[150:151], s[16:17], v[4:5]
	v_fmac_f64_e32 v[14:15], s[8:9], v[8:9]
	v_add_f64 v[12:13], v[12:13], v[16:17]
	v_fmac_f64_e32 v[150:151], s[14:15], v[8:9]
	v_fmac_f64_e32 v[14:15], s[12:13], v[12:13]
	;; [unrolled: 1-line block ×3, first 2 shown]
	v_add_f64 v[12:13], v[142:143], v[20:21]
	v_fmac_f64_e32 v[126:127], -0.5, v[12:13]
	v_fma_f64 v[18:19], s[16:17], v[8:9], v[126:127]
	v_add_f64 v[12:13], v[32:33], -v[142:143]
	v_add_f64 v[16:17], v[28:29], -v[20:21]
	v_fmac_f64_e32 v[126:127], s[10:11], v[8:9]
	v_add_f64 v[12:13], v[12:13], v[16:17]
	v_fmac_f64_e32 v[126:127], s[14:15], v[4:5]
	v_fmac_f64_e32 v[126:127], s[12:13], v[12:13]
	v_mul_f64 v[130:131], v[126:127], s[16:17]
	v_mul_f64 v[126:127], v[126:127], s[20:21]
	v_fmac_f64_e32 v[18:19], s[8:9], v[4:5]
	v_mul_f64 v[28:29], v[14:15], s[14:15]
	v_fmac_f64_e32 v[130:131], s[20:21], v[124:125]
	v_fmac_f64_e32 v[126:127], s[10:11], v[124:125]
	v_mul_f64 v[124:125], v[150:151], s[18:19]
	v_fmac_f64_e32 v[18:19], s[12:13], v[12:13]
	v_fmac_f64_e32 v[28:29], s[22:23], v[6:7]
	;; [unrolled: 1-line block ×3, first 2 shown]
	v_add_f64 v[8:9], v[34:35], v[28:29]
	v_mul_f64 v[30:31], v[18:19], s[16:17]
	v_mul_f64 v[146:147], v[14:15], s[22:23]
	;; [unrolled: 1-line block ×3, first 2 shown]
	v_add_f64 v[14:15], v[42:43], v[148:149]
	v_add_f64 v[18:19], v[38:39], v[126:127]
	;; [unrolled: 1-line block ×3, first 2 shown]
	v_add_f64 v[28:29], v[34:35], -v[28:29]
	v_add_f64 v[34:35], v[42:43], -v[148:149]
	;; [unrolled: 1-line block ×4, first 2 shown]
	v_add_f64 v[56:57], v[76:77], v[128:129]
	v_add_f64 v[56:57], v[56:57], v[68:69]
	v_mul_f64 v[142:143], v[150:151], s[14:15]
	v_add_f64 v[56:57], v[56:57], v[70:71]
	v_fmac_f64_e32 v[30:31], s[12:13], v[10:11]
	v_fmac_f64_e32 v[142:143], s[18:19], v[144:145]
	;; [unrolled: 1-line block ×3, first 2 shown]
	v_add_f64 v[124:125], v[56:57], v[72:73]
	v_add_f64 v[56:57], v[68:69], v[70:71]
	;; [unrolled: 1-line block ×5, first 2 shown]
	v_fmac_f64_e32 v[146:147], s[8:9], v[6:7]
	v_add_f64 v[20:21], v[26:27], v[142:143]
	v_add_f64 v[6:7], v[74:75], v[152:153]
	v_add_f64 v[32:33], v[24:25], -v[140:141]
	v_add_f64 v[24:25], v[40:41], -v[30:31]
	;; [unrolled: 1-line block ×5, first 2 shown]
	v_fma_f64 v[74:75], -0.5, v[56:57], v[76:77]
	v_add_f64 v[56:57], v[122:123], -v[54:55]
	v_add_f64 v[10:11], v[58:59], v[146:147]
	v_add_f64 v[30:31], v[58:59], -v[146:147]
	v_fma_f64 v[126:127], s[16:17], v[56:57], v[74:75]
	v_add_f64 v[58:59], v[66:67], -v[62:63]
	v_add_f64 v[130:131], v[128:129], -v[68:69]
	;; [unrolled: 1-line block ×3, first 2 shown]
	v_fmac_f64_e32 v[74:75], s[10:11], v[56:57]
	v_fmac_f64_e32 v[126:127], s[14:15], v[58:59]
	v_add_f64 v[130:131], v[130:131], v[140:141]
	v_fmac_f64_e32 v[74:75], s[8:9], v[58:59]
	v_fmac_f64_e32 v[126:127], s[12:13], v[130:131]
	;; [unrolled: 1-line block ×3, first 2 shown]
	v_add_f64 v[130:131], v[128:129], v[72:73]
	v_fmac_f64_e32 v[76:77], -0.5, v[130:131]
	v_fma_f64 v[142:143], s[10:11], v[58:59], v[76:77]
	v_fmac_f64_e32 v[76:77], s[16:17], v[58:59]
	v_fmac_f64_e32 v[142:143], s[14:15], v[56:57]
	;; [unrolled: 1-line block ×3, first 2 shown]
	v_add_f64 v[56:57], v[78:79], v[122:123]
	v_add_f64 v[130:131], v[68:69], -v[128:129]
	v_add_f64 v[140:141], v[70:71], -v[72:73]
	v_add_f64 v[56:57], v[56:57], v[66:67]
	v_add_f64 v[130:131], v[130:131], v[140:141]
	;; [unrolled: 1-line block ×3, first 2 shown]
	v_fmac_f64_e32 v[142:143], s[12:13], v[130:131]
	v_fmac_f64_e32 v[76:77], s[12:13], v[130:131]
	v_add_f64 v[130:131], v[56:57], v[54:55]
	v_add_f64 v[56:57], v[66:67], v[62:63]
	v_fma_f64 v[140:141], -0.5, v[56:57], v[78:79]
	v_add_f64 v[56:57], v[128:129], -v[72:73]
	v_fma_f64 v[128:129], s[10:11], v[56:57], v[140:141]
	v_add_f64 v[58:59], v[68:69], -v[70:71]
	v_add_f64 v[68:69], v[122:123], -v[66:67]
	;; [unrolled: 1-line block ×3, first 2 shown]
	v_fmac_f64_e32 v[140:141], s[16:17], v[56:57]
	v_fmac_f64_e32 v[128:129], s[8:9], v[58:59]
	v_add_f64 v[68:69], v[68:69], v[70:71]
	v_fmac_f64_e32 v[140:141], s[14:15], v[58:59]
	v_fmac_f64_e32 v[128:129], s[12:13], v[68:69]
	;; [unrolled: 1-line block ×3, first 2 shown]
	v_add_f64 v[68:69], v[122:123], v[54:55]
	v_fmac_f64_e32 v[78:79], -0.5, v[68:69]
	v_fma_f64 v[144:145], s[16:17], v[58:59], v[78:79]
	v_add_f64 v[66:67], v[66:67], -v[122:123]
	v_add_f64 v[54:55], v[62:63], -v[54:55]
	v_fmac_f64_e32 v[78:79], s[10:11], v[58:59]
	v_fmac_f64_e32 v[144:145], s[8:9], v[56:57]
	v_add_f64 v[54:55], v[66:67], v[54:55]
	v_fmac_f64_e32 v[78:79], s[14:15], v[56:57]
	v_fmac_f64_e32 v[144:145], s[12:13], v[54:55]
	;; [unrolled: 1-line block ×3, first 2 shown]
	v_add_f64 v[54:55], v[108:109], v[82:83]
	v_add_f64 v[54:55], v[54:55], v[64:65]
	;; [unrolled: 1-line block ×5, first 2 shown]
	v_fma_f64 v[62:63], -0.5, v[54:55], v[108:109]
	v_add_f64 v[54:55], v[44:45], -v[48:49]
	v_fma_f64 v[58:59], s[16:17], v[54:55], v[62:63]
	v_add_f64 v[56:57], v[46:47], -v[52:53]
	v_add_f64 v[68:69], v[82:83], -v[64:65]
	;; [unrolled: 1-line block ×3, first 2 shown]
	v_fmac_f64_e32 v[62:63], s[10:11], v[54:55]
	v_fmac_f64_e32 v[58:59], s[14:15], v[56:57]
	v_add_f64 v[68:69], v[68:69], v[70:71]
	v_fmac_f64_e32 v[62:63], s[8:9], v[56:57]
	v_fmac_f64_e32 v[58:59], s[12:13], v[68:69]
	;; [unrolled: 1-line block ×3, first 2 shown]
	v_add_f64 v[68:69], v[82:83], v[50:51]
	v_fmac_f64_e32 v[108:109], -0.5, v[68:69]
	v_fma_f64 v[68:69], s[10:11], v[56:57], v[108:109]
	v_fmac_f64_e32 v[108:109], s[16:17], v[56:57]
	v_fmac_f64_e32 v[68:69], s[14:15], v[54:55]
	;; [unrolled: 1-line block ×3, first 2 shown]
	v_add_f64 v[54:55], v[80:81], v[44:45]
	v_add_f64 v[70:71], v[64:65], -v[82:83]
	v_add_f64 v[72:73], v[60:61], -v[50:51]
	v_add_f64 v[54:55], v[54:55], v[46:47]
	v_add_f64 v[70:71], v[70:71], v[72:73]
	;; [unrolled: 1-line block ×3, first 2 shown]
	v_fmac_f64_e32 v[68:69], s[12:13], v[70:71]
	v_fmac_f64_e32 v[108:109], s[12:13], v[70:71]
	v_add_f64 v[70:71], v[54:55], v[48:49]
	v_add_f64 v[54:55], v[46:47], v[52:53]
	v_fma_f64 v[72:73], -0.5, v[54:55], v[80:81]
	v_add_f64 v[50:51], v[82:83], -v[50:51]
	v_fma_f64 v[54:55], s[10:11], v[50:51], v[72:73]
	v_add_f64 v[56:57], v[64:65], -v[60:61]
	v_add_f64 v[60:61], v[44:45], -v[46:47]
	;; [unrolled: 1-line block ×3, first 2 shown]
	v_fmac_f64_e32 v[72:73], s[16:17], v[50:51]
	v_fmac_f64_e32 v[54:55], s[8:9], v[56:57]
	v_add_f64 v[60:61], v[60:61], v[64:65]
	v_fmac_f64_e32 v[72:73], s[14:15], v[56:57]
	v_fmac_f64_e32 v[54:55], s[12:13], v[60:61]
	;; [unrolled: 1-line block ×3, first 2 shown]
	v_add_f64 v[60:61], v[44:45], v[48:49]
	v_fmac_f64_e32 v[80:81], -0.5, v[60:61]
	v_fma_f64 v[60:61], s[16:17], v[56:57], v[80:81]
	v_add_f64 v[44:45], v[46:47], -v[44:45]
	v_add_f64 v[46:47], v[52:53], -v[48:49]
	v_fmac_f64_e32 v[80:81], s[10:11], v[56:57]
	v_add_f64 v[44:45], v[44:45], v[46:47]
	v_fmac_f64_e32 v[80:81], s[14:15], v[50:51]
	v_fmac_f64_e32 v[80:81], s[12:13], v[44:45]
	;; [unrolled: 1-line block ×3, first 2 shown]
	v_mul_f64 v[122:123], v[80:81], s[16:17]
	v_fmac_f64_e32 v[60:61], s[12:13], v[44:45]
	v_fmac_f64_e32 v[122:123], s[20:21], v[108:109]
	v_mul_f64 v[152:153], v[80:81], s[20:21]
	v_mul_f64 v[64:65], v[54:55], s[14:15]
	;; [unrolled: 1-line block ×3, first 2 shown]
	v_add_f64 v[56:57], v[76:77], v[122:123]
	v_mul_f64 v[146:147], v[72:73], s[14:15]
	v_mul_f64 v[148:149], v[54:55], s[22:23]
	v_fmac_f64_e32 v[152:153], s[10:11], v[108:109]
	v_mul_f64 v[108:109], v[72:73], s[18:19]
	v_add_f64 v[80:81], v[76:77], -v[122:123]
	v_add_f64 v[122:123], v[116:117], v[118:119]
	v_add_f64 v[52:53], v[124:125], v[66:67]
	v_fmac_f64_e32 v[64:65], s[22:23], v[58:59]
	v_fmac_f64_e32 v[82:83], s[12:13], v[68:69]
	;; [unrolled: 1-line block ×4, first 2 shown]
	v_mul_f64 v[150:151], v[60:61], s[12:13]
	v_fmac_f64_e32 v[108:109], s[8:9], v[62:63]
	v_add_f64 v[72:73], v[124:125], -v[66:67]
	v_fma_f64 v[124:125], -0.5, v[122:123], v[0:1]
	v_add_f64 v[122:123], v[104:105], -v[112:113]
	v_add_f64 v[48:49], v[126:127], v[64:65]
	v_add_f64 v[44:45], v[142:143], v[82:83]
	v_fmac_f64_e32 v[150:151], s[10:11], v[68:69]
	v_add_f64 v[60:61], v[74:75], v[146:147]
	v_add_f64 v[54:55], v[130:131], v[70:71]
	;; [unrolled: 1-line block ×5, first 2 shown]
	v_add_f64 v[68:69], v[126:127], -v[64:65]
	v_add_f64 v[64:65], v[142:143], -v[82:83]
	;; [unrolled: 1-line block ×7, first 2 shown]
	v_fma_f64 v[126:127], s[16:17], v[122:123], v[124:125]
	v_add_f64 v[128:129], v[106:107], -v[110:111]
	v_add_f64 v[130:131], v[114:115], -v[116:117]
	;; [unrolled: 1-line block ×3, first 2 shown]
	v_fmac_f64_e32 v[124:125], s[10:11], v[122:123]
	v_fmac_f64_e32 v[126:127], s[14:15], v[128:129]
	v_add_f64 v[130:131], v[130:131], v[140:141]
	v_fmac_f64_e32 v[124:125], s[8:9], v[128:129]
	v_fmac_f64_e32 v[126:127], s[12:13], v[130:131]
	;; [unrolled: 1-line block ×3, first 2 shown]
	v_add_f64 v[130:131], v[114:115], v[120:121]
	v_add_f64 v[108:109], v[0:1], v[114:115]
	v_fmac_f64_e32 v[0:1], -0.5, v[130:131]
	v_fma_f64 v[130:131], s[10:11], v[128:129], v[0:1]
	v_fmac_f64_e32 v[0:1], s[16:17], v[128:129]
	v_fmac_f64_e32 v[130:131], s[14:15], v[122:123]
	;; [unrolled: 1-line block ×3, first 2 shown]
	v_add_f64 v[122:123], v[2:3], v[104:105]
	v_add_f64 v[122:123], v[122:123], v[106:107]
	;; [unrolled: 1-line block ×4, first 2 shown]
	v_add_f64 v[140:141], v[116:117], -v[114:115]
	v_add_f64 v[142:143], v[118:119], -v[120:121]
	v_add_f64 v[128:129], v[122:123], v[112:113]
	v_add_f64 v[122:123], v[106:107], v[110:111]
	;; [unrolled: 1-line block ×4, first 2 shown]
	v_fma_f64 v[122:123], -0.5, v[122:123], v[2:3]
	v_add_f64 v[114:115], v[114:115], -v[120:121]
	v_add_f64 v[108:109], v[108:109], v[120:121]
	v_fmac_f64_e32 v[130:131], s[12:13], v[140:141]
	v_fmac_f64_e32 v[0:1], s[12:13], v[140:141]
	v_fma_f64 v[120:121], s[10:11], v[114:115], v[122:123]
	v_add_f64 v[116:117], v[116:117], -v[118:119]
	v_add_f64 v[118:119], v[104:105], -v[106:107]
	;; [unrolled: 1-line block ×3, first 2 shown]
	v_fmac_f64_e32 v[122:123], s[16:17], v[114:115]
	v_fmac_f64_e32 v[120:121], s[8:9], v[116:117]
	v_add_f64 v[118:119], v[118:119], v[140:141]
	v_fmac_f64_e32 v[122:123], s[14:15], v[116:117]
	v_fmac_f64_e32 v[120:121], s[12:13], v[118:119]
	;; [unrolled: 1-line block ×3, first 2 shown]
	v_add_f64 v[118:119], v[104:105], v[112:113]
	v_add_f64 v[104:105], v[106:107], -v[104:105]
	v_add_f64 v[106:107], v[110:111], -v[112:113]
	v_fmac_f64_e32 v[2:3], -0.5, v[118:119]
	v_add_f64 v[104:105], v[104:105], v[106:107]
	v_add_f64 v[106:107], v[94:95], v[96:97]
	v_fma_f64 v[118:119], s[16:17], v[116:117], v[2:3]
	v_fmac_f64_e32 v[2:3], s[10:11], v[116:117]
	v_fma_f64 v[106:107], -0.5, v[106:107], v[98:99]
	v_add_f64 v[110:111], v[84:85], -v[90:91]
	v_fmac_f64_e32 v[118:119], s[8:9], v[114:115]
	v_fmac_f64_e32 v[2:3], s[14:15], v[114:115]
	v_fma_f64 v[112:113], s[16:17], v[110:111], v[106:107]
	v_add_f64 v[114:115], v[86:87], -v[88:89]
	v_add_f64 v[116:117], v[92:93], -v[94:95]
	;; [unrolled: 1-line block ×3, first 2 shown]
	v_fmac_f64_e32 v[106:107], s[10:11], v[110:111]
	v_fmac_f64_e32 v[112:113], s[14:15], v[114:115]
	v_add_f64 v[116:117], v[116:117], v[140:141]
	v_fmac_f64_e32 v[106:107], s[8:9], v[114:115]
	v_fmac_f64_e32 v[112:113], s[12:13], v[116:117]
	;; [unrolled: 1-line block ×3, first 2 shown]
	v_add_f64 v[116:117], v[92:93], v[100:101]
	v_fmac_f64_e32 v[118:119], s[12:13], v[104:105]
	v_fmac_f64_e32 v[2:3], s[12:13], v[104:105]
	v_add_f64 v[104:105], v[98:99], v[92:93]
	v_fmac_f64_e32 v[98:99], -0.5, v[116:117]
	v_add_f64 v[104:105], v[104:105], v[94:95]
	v_fma_f64 v[116:117], s[10:11], v[114:115], v[98:99]
	v_add_f64 v[140:141], v[94:95], -v[92:93]
	v_add_f64 v[142:143], v[96:97], -v[100:101]
	v_fmac_f64_e32 v[98:99], s[16:17], v[114:115]
	v_add_f64 v[114:115], v[86:87], v[88:89]
	v_add_f64 v[104:105], v[104:105], v[96:97]
	v_fmac_f64_e32 v[116:117], s[14:15], v[110:111]
	v_add_f64 v[140:141], v[140:141], v[142:143]
	v_fmac_f64_e32 v[98:99], s[8:9], v[110:111]
	v_fma_f64 v[114:115], -0.5, v[114:115], v[102:103]
	v_add_f64 v[92:93], v[92:93], -v[100:101]
	v_add_f64 v[104:105], v[104:105], v[100:101]
	v_fmac_f64_e32 v[116:117], s[12:13], v[140:141]
	v_fmac_f64_e32 v[98:99], s[12:13], v[140:141]
	v_fma_f64 v[100:101], s[10:11], v[92:93], v[114:115]
	v_add_f64 v[94:95], v[94:95], -v[96:97]
	v_add_f64 v[96:97], v[84:85], -v[86:87]
	;; [unrolled: 1-line block ×3, first 2 shown]
	v_fmac_f64_e32 v[114:115], s[16:17], v[92:93]
	v_fmac_f64_e32 v[100:101], s[8:9], v[94:95]
	v_add_f64 v[96:97], v[96:97], v[140:141]
	v_fmac_f64_e32 v[114:115], s[14:15], v[94:95]
	v_fmac_f64_e32 v[100:101], s[12:13], v[96:97]
	;; [unrolled: 1-line block ×3, first 2 shown]
	v_add_f64 v[96:97], v[84:85], v[90:91]
	v_add_f64 v[110:111], v[102:103], v[84:85]
	v_fmac_f64_e32 v[102:103], -0.5, v[96:97]
	v_add_f64 v[110:111], v[110:111], v[86:87]
	v_fma_f64 v[140:141], s[16:17], v[94:95], v[102:103]
	v_add_f64 v[84:85], v[86:87], -v[84:85]
	v_add_f64 v[86:87], v[88:89], -v[90:91]
	v_add_f64 v[46:47], v[144:145], v[150:151]
	v_add_f64 v[66:67], v[144:145], -v[150:151]
	v_add_f64 v[110:111], v[110:111], v[88:89]
	v_fmac_f64_e32 v[140:141], s[8:9], v[92:93]
	v_add_f64 v[84:85], v[84:85], v[86:87]
	v_mul_f64 v[150:151], v[100:101], s[22:23]
	v_add_f64 v[110:111], v[110:111], v[90:91]
	v_fmac_f64_e32 v[140:141], s[12:13], v[84:85]
	v_fmac_f64_e32 v[150:151], s[8:9], v[112:113]
	;; [unrolled: 1-line block ×3, first 2 shown]
	v_mul_f64 v[144:145], v[140:141], s[16:17]
	v_mul_f64 v[148:149], v[114:115], s[14:15]
	;; [unrolled: 1-line block ×3, first 2 shown]
	v_add_f64 v[94:95], v[128:129], v[110:111]
	v_add_f64 v[90:91], v[120:121], v[150:151]
	v_mul_f64 v[140:141], v[114:115], s[18:19]
	v_add_f64 v[114:115], v[128:129], -v[110:111]
	v_add_f64 v[110:111], v[120:121], -v[150:151]
	v_mul_u32_u24_e32 v120, 0x5a0, v167
	v_lshlrev_b32_sdwa v121, v162, v168 dst_sel:DWORD dst_unused:UNUSED_PAD src0_sel:DWORD src1_sel:BYTE_0
	v_fmac_f64_e32 v[102:103], s[14:15], v[92:93]
	v_add3_u32 v120, 0, v120, v121
	v_fmac_f64_e32 v[102:103], s[12:13], v[84:85]
	ds_write_b128 v120, v[12:15]
	ds_write_b128 v120, v[8:11] offset:144
	ds_write_b128 v120, v[4:7] offset:288
	;; [unrolled: 1-line block ×9, first 2 shown]
	v_mul_u32_u24_e32 v4, 0x5a0, v165
	v_lshlrev_b32_sdwa v5, v162, v166 dst_sel:DWORD dst_unused:UNUSED_PAD src0_sel:DWORD src1_sel:BYTE_0
	v_mul_f64 v[146:147], v[102:103], s[16:17]
	v_add3_u32 v4, 0, v4, v5
	v_mul_f64 v[142:143], v[100:101], s[14:15]
	v_fmac_f64_e32 v[146:147], s[20:21], v[98:99]
	v_fmac_f64_e32 v[148:149], s[18:19], v[106:107]
	v_mul_f64 v[154:155], v[102:103], s[20:21]
	ds_write_b128 v4, v[52:55]
	ds_write_b128 v4, v[48:51] offset:144
	ds_write_b128 v4, v[44:47] offset:288
	;; [unrolled: 1-line block ×9, first 2 shown]
	v_mul_u32_u24_e32 v4, 0x5a0, v169
	v_lshlrev_b32_e32 v5, 4, v170
	v_add_f64 v[92:93], v[108:109], v[104:105]
	v_fmac_f64_e32 v[142:143], s[22:23], v[112:113]
	v_fmac_f64_e32 v[144:145], s[12:13], v[116:117]
	v_add_f64 v[96:97], v[0:1], v[146:147]
	v_fmac_f64_e32 v[152:153], s[10:11], v[116:117]
	v_fmac_f64_e32 v[154:155], s[10:11], v[98:99]
	;; [unrolled: 1-line block ×3, first 2 shown]
	v_add_f64 v[116:117], v[0:1], -v[146:147]
	v_add_f64 v[0:1], v[124:125], -v[148:149]
	v_add3_u32 v4, 0, v4, v5
	s_movk_i32 s8, 0x5a
	v_add_f64 v[88:89], v[126:127], v[142:143]
	v_add_f64 v[84:85], v[130:131], v[144:145]
	;; [unrolled: 1-line block ×6, first 2 shown]
	v_add_f64 v[112:113], v[108:109], -v[104:105]
	v_add_f64 v[108:109], v[126:127], -v[142:143]
	;; [unrolled: 1-line block ×6, first 2 shown]
	ds_write_b128 v4, v[92:95]
	ds_write_b128 v4, v[88:91] offset:144
	ds_write_b128 v4, v[84:87] offset:288
	ds_write_b128 v4, v[96:99] offset:432
	ds_write_b128 v4, v[100:103] offset:576
	ds_write_b128 v4, v[112:115] offset:720
	ds_write_b128 v4, v[108:111] offset:864
	ds_write_b128 v4, v[104:107] offset:1008
	ds_write_b128 v4, v[116:119] offset:1152
	ds_write_b128 v4, v[0:3] offset:1296
	v_add_u32_e32 v0, 0xffffffa6, v134
	v_cmp_gt_u32_e32 vcc, s8, v134
	v_mov_b32_e32 v1, v137
	s_waitcnt lgkmcnt(0)
	v_cndmask_b32_e32 v148, v0, v134, vcc
	v_mul_i32_i24_e32 v0, 5, v148
	v_lshl_add_u64 v[0:1], v[0:1], 4, s[4:5]
	s_barrier
	global_load_dwordx4 v[96:99], v[0:1], off offset:1392
	global_load_dwordx4 v[92:95], v[0:1], off offset:1408
	;; [unrolled: 1-line block ×5, first 2 shown]
	s_movk_i32 s8, 0xb7
	v_mul_lo_u16_sdwa v0, v164, s8 dst_sel:DWORD dst_unused:UNUSED_PAD src0_sel:BYTE_0 src1_sel:DWORD
	v_lshrrev_b16_e32 v150, 14, v0
	v_mul_lo_u16_e32 v0, 0x5a, v150
	v_sub_u16_e32 v149, v164, v0
	v_mul_u32_u24_sdwa v0, v149, v163 dst_sel:DWORD dst_unused:UNUSED_PAD src0_sel:BYTE_0 src1_sel:DWORD
	v_lshlrev_b32_e32 v0, 4, v0
	global_load_dwordx4 v[48:51], v0, s[4:5] offset:1392
	global_load_dwordx4 v[44:47], v0, s[4:5] offset:1408
	;; [unrolled: 1-line block ×3, first 2 shown]
	s_movk_i32 s8, 0x2d83
	ds_read_b128 v[104:107], v160 offset:8640
	ds_read_b128 v[52:55], v160 offset:10368
	;; [unrolled: 1-line block ×6, first 2 shown]
	global_load_dwordx4 v[16:19], v0, s[4:5] offset:1440
	global_load_dwordx4 v[28:31], v0, s[4:5] offset:1456
	v_mul_u32_u24_sdwa v0, v136, s8 dst_sel:DWORD dst_unused:UNUSED_PAD src0_sel:WORD_0 src1_sel:DWORD
	v_lshrrev_b32_e32 v151, 20, v0
	v_mul_lo_u16_e32 v0, 0x5a, v151
	v_sub_u16_e32 v152, v136, v0
	v_mul_u32_u24_e32 v0, 5, v152
	v_lshlrev_b32_e32 v124, 4, v0
	global_load_dwordx4 v[40:43], v124, s[4:5] offset:1408
	global_load_dwordx4 v[76:79], v124, s[4:5] offset:1392
	ds_read_b128 v[100:103], v160 offset:19008
	ds_read_b128 v[68:71], v160 offset:20736
	;; [unrolled: 1-line block ×4, first 2 shown]
	ds_read_b128 v[4:7], v161
	ds_read_b128 v[0:3], v135
	ds_read_b128 v[108:111], v160 offset:17280
	ds_read_b128 v[36:39], v160 offset:15552
	global_load_dwordx4 v[60:63], v124, s[4:5] offset:1440
	global_load_dwordx4 v[72:75], v124, s[4:5] offset:1424
	ds_read_b128 v[120:123], v160 offset:34560
	ds_read_b128 v[32:35], v160 offset:32832
	s_mov_b64 s[10:11], 0x4350
	s_waitcnt vmcnt(13) lgkmcnt(14)
	v_mul_f64 v[116:117], v[106:107], v[98:99]
	v_mul_f64 v[98:99], v[104:105], v[98:99]
	v_fmac_f64_e32 v[116:117], v[104:105], v[96:97]
	v_fma_f64 v[118:119], v[106:107], v[96:97], -v[98:99]
	v_mul_u32_u24_sdwa v96, v138, s8 dst_sel:DWORD dst_unused:UNUSED_PAD src0_sel:WORD_0 src1_sel:DWORD
	v_lshrrev_b32_e32 v153, 20, v96
	global_load_dwordx4 v[96:99], v124, s[4:5] offset:1456
	v_mul_lo_u16_e32 v104, 0x5a, v153
	v_sub_u16_e32 v154, v138, v104
	v_mul_u32_u24_e32 v104, 5, v154
	v_lshlrev_b32_e32 v126, 4, v104
	global_load_dwordx4 v[104:107], v126, s[4:5] offset:1392
	s_waitcnt vmcnt(14) lgkmcnt(3)
	v_mul_f64 v[140:141], v[110:111], v[94:95]
	v_mul_f64 v[94:95], v[108:109], v[94:95]
	v_fmac_f64_e32 v[140:141], v[108:109], v[92:93]
	v_fma_f64 v[142:143], v[110:111], v[92:93], -v[94:95]
	global_load_dwordx4 v[92:95], v126, s[4:5] offset:1424
	global_load_dwordx4 v[108:111], v126, s[4:5] offset:1408
	s_waitcnt vmcnt(14) lgkmcnt(1)
	v_mul_f64 v[144:145], v[122:123], v[86:87]
	v_mul_f64 v[86:87], v[120:121], v[86:87]
	v_fmac_f64_e32 v[144:145], v[120:121], v[84:85]
	v_fma_f64 v[146:147], v[122:123], v[84:85], -v[86:87]
	global_load_dwordx4 v[84:87], v126, s[4:5] offset:1440
	v_mul_f64 v[124:125], v[114:115], v[90:91]
	v_mul_f64 v[90:91], v[112:113], v[90:91]
	v_fmac_f64_e32 v[124:125], v[112:113], v[88:89]
	v_fma_f64 v[128:129], v[114:115], v[88:89], -v[90:91]
	global_load_dwordx4 v[112:115], v126, s[4:5] offset:1456
	v_mul_u32_u24_sdwa v88, v139, s8 dst_sel:DWORD dst_unused:UNUSED_PAD src0_sel:WORD_0 src1_sel:DWORD
	v_lshrrev_b32_e32 v155, 20, v88
	v_mul_lo_u16_e32 v88, 0x5a, v155
	s_waitcnt vmcnt(15)
	v_mul_f64 v[130:131], v[66:67], v[26:27]
	v_sub_u16_e32 v139, v139, v88
	v_mul_f64 v[26:27], v[64:65], v[26:27]
	v_fmac_f64_e32 v[130:131], v[64:65], v[24:25]
	v_mul_u32_u24_e32 v88, 5, v139
	v_fma_f64 v[172:173], v[66:67], v[24:25], -v[26:27]
	s_waitcnt vmcnt(14)
	v_mul_f64 v[64:65], v[54:55], v[50:51]
	v_mul_f64 v[24:25], v[52:53], v[50:51]
	v_lshlrev_b32_e32 v88, 4, v88
	v_fmac_f64_e32 v[64:65], v[52:53], v[48:49]
	v_fma_f64 v[48:49], v[54:55], v[48:49], -v[24:25]
	s_waitcnt vmcnt(13)
	v_mul_f64 v[26:27], v[102:103], v[46:47]
	v_mul_f64 v[24:25], v[100:101], v[46:47]
	global_load_dwordx4 v[120:123], v88, s[4:5] offset:1408
	global_load_dwordx4 v[156:159], v88, s[4:5] offset:1392
	;; [unrolled: 1-line block ×4, first 2 shown]
	v_fmac_f64_e32 v[26:27], v[100:101], v[44:45]
	v_fma_f64 v[50:51], v[102:103], v[44:45], -v[24:25]
	global_load_dwordx4 v[44:47], v88, s[4:5] offset:1456
	s_waitcnt vmcnt(17)
	v_mul_f64 v[24:25], v[22:23], v[14:15]
	v_mul_f64 v[14:15], v[20:21], v[14:15]
	v_fmac_f64_e32 v[24:25], v[20:21], v[12:13]
	v_fma_f64 v[174:175], v[22:23], v[12:13], -v[14:15]
	ds_read_b128 v[12:15], v160 offset:12096
	ds_read_b128 v[20:23], v160 offset:13824
	s_waitcnt vmcnt(15)
	v_mul_f64 v[180:181], v[10:11], v[30:31]
	v_mul_f64 v[176:177], v[82:83], v[18:19]
	;; [unrolled: 1-line block ×3, first 2 shown]
	v_fmac_f64_e32 v[180:181], v[8:9], v[28:29]
	v_mul_f64 v[8:9], v[8:9], v[30:31]
	v_fmac_f64_e32 v[176:177], v[80:81], v[16:17]
	v_fma_f64 v[178:179], v[82:83], v[16:17], -v[18:19]
	v_fma_f64 v[182:183], v[10:11], v[28:29], -v[8:9]
	ds_read_b128 v[8:11], v160 offset:29376
	ds_read_b128 v[16:19], v160 offset:31104
	s_waitcnt vmcnt(13) lgkmcnt(3)
	v_mul_f64 v[126:127], v[14:15], v[78:79]
	v_fmac_f64_e32 v[126:127], v[12:13], v[76:77]
	v_mul_f64 v[12:13], v[12:13], v[78:79]
	v_fma_f64 v[76:77], v[14:15], v[76:77], -v[12:13]
	v_mul_f64 v[12:13], v[68:69], v[42:43]
	v_mul_f64 v[78:79], v[70:71], v[42:43]
	v_fma_f64 v[70:71], v[70:71], v[40:41], -v[12:13]
	ds_read_b128 v[12:15], v160 offset:46656
	ds_read_b128 v[28:31], v160 offset:48384
	s_waitcnt vmcnt(11) lgkmcnt(3)
	v_mul_f64 v[66:67], v[10:11], v[74:75]
	v_fmac_f64_e32 v[66:67], v[8:9], v[72:73]
	v_mul_f64 v[8:9], v[8:9], v[74:75]
	v_fmac_f64_e32 v[78:79], v[68:69], v[40:41]
	v_fma_f64 v[68:69], v[10:11], v[72:73], -v[8:9]
	v_mul_f64 v[72:73], v[58:59], v[62:63]
	v_mul_f64 v[8:9], v[56:57], v[62:63]
	v_fmac_f64_e32 v[72:73], v[56:57], v[60:61]
	v_fma_f64 v[74:75], v[58:59], v[60:61], -v[8:9]
	ds_read_b128 v[56:59], v160 offset:1728
	ds_read_b128 v[8:11], v160 offset:6912
	s_movk_i32 s8, 0x59
	v_cmp_lt_u32_e32 vcc, s8, v134
	s_mov_b64 s[8:9], 0x2190
	s_waitcnt vmcnt(10) lgkmcnt(3)
	v_mul_f64 v[60:61], v[14:15], v[98:99]
	v_fmac_f64_e32 v[60:61], v[12:13], v[96:97]
	v_mul_f64 v[12:13], v[12:13], v[98:99]
	v_fma_f64 v[62:63], v[14:15], v[96:97], -v[12:13]
	ds_read_b128 v[12:15], v160 offset:22464
	s_waitcnt vmcnt(9)
	v_mul_f64 v[90:91], v[22:23], v[106:107]
	v_fmac_f64_e32 v[90:91], v[20:21], v[104:105]
	v_mul_f64 v[20:21], v[20:21], v[106:107]
	v_fma_f64 v[96:97], v[22:23], v[104:105], -v[20:21]
	ds_read_b128 v[20:23], v160 offset:24192
	s_waitcnt vmcnt(7) lgkmcnt(1)
	v_mul_f64 v[88:89], v[14:15], v[110:111]
	v_fmac_f64_e32 v[88:89], v[12:13], v[108:109]
	v_mul_f64 v[12:13], v[12:13], v[110:111]
	v_fma_f64 v[98:99], v[14:15], v[108:109], -v[12:13]
	ds_read_b128 v[12:15], v160 offset:39744
	v_mul_f64 v[80:81], v[18:19], v[94:95]
	v_fmac_f64_e32 v[80:81], v[16:17], v[92:93]
	v_mul_f64 v[16:17], v[16:17], v[94:95]
	v_fma_f64 v[82:83], v[18:19], v[92:93], -v[16:17]
	ds_read_b128 v[16:19], v160 offset:41472
	s_waitcnt vmcnt(6) lgkmcnt(1)
	v_mul_f64 v[92:93], v[14:15], v[86:87]
	v_fmac_f64_e32 v[92:93], v[12:13], v[84:85]
	v_mul_f64 v[12:13], v[12:13], v[86:87]
	v_fma_f64 v[94:95], v[14:15], v[84:85], -v[12:13]
	s_waitcnt vmcnt(5)
	v_mul_f64 v[12:13], v[28:29], v[114:115]
	v_fma_f64 v[86:87], v[30:31], v[112:113], -v[12:13]
	ds_read_b128 v[168:171], v160
	ds_read_b128 v[12:15], v160 offset:50112
	v_mul_f64 v[84:85], v[30:31], v[114:115]
	v_fmac_f64_e32 v[84:85], v[28:29], v[112:113]
	s_waitcnt lgkmcnt(0)
	s_barrier
	s_waitcnt vmcnt(4)
	v_mul_f64 v[104:105], v[22:23], v[122:123]
	v_fmac_f64_e32 v[104:105], v[20:21], v[120:121]
	v_mul_f64 v[20:21], v[20:21], v[122:123]
	v_fma_f64 v[108:109], v[22:23], v[120:121], -v[20:21]
	s_waitcnt vmcnt(1)
	v_mul_f64 v[20:21], v[32:33], v[166:167]
	s_waitcnt vmcnt(0)
	v_mul_f64 v[106:107], v[14:15], v[46:47]
	v_fmac_f64_e32 v[106:107], v[12:13], v[44:45]
	v_mul_f64 v[12:13], v[12:13], v[46:47]
	v_fma_f64 v[114:115], v[14:15], v[44:45], -v[12:13]
	v_add_f64 v[12:13], v[168:169], v[140:141]
	v_fma_f64 v[102:103], v[34:35], v[164:165], -v[20:21]
	v_add_f64 v[20:21], v[12:13], v[144:145]
	v_add_f64 v[12:13], v[140:141], v[144:145]
	v_fmac_f64_e32 v[168:169], -0.5, v[12:13]
	v_add_f64 v[12:13], v[142:143], -v[146:147]
	v_mul_f64 v[100:101], v[34:35], v[166:167]
	v_fma_f64 v[22:23], s[6:7], v[12:13], v[168:169]
	v_fmac_f64_e32 v[168:169], s[2:3], v[12:13]
	v_add_f64 v[12:13], v[170:171], v[142:143]
	v_fmac_f64_e32 v[100:101], v[32:33], v[164:165]
	v_add_f64 v[32:33], v[12:13], v[146:147]
	v_add_f64 v[12:13], v[142:143], v[146:147]
	v_fmac_f64_e32 v[170:171], -0.5, v[12:13]
	v_add_f64 v[12:13], v[140:141], -v[144:145]
	v_mul_f64 v[110:111], v[38:39], v[158:159]
	v_fma_f64 v[34:35], s[2:3], v[12:13], v[170:171]
	v_fmac_f64_e32 v[170:171], s[6:7], v[12:13]
	v_add_f64 v[12:13], v[116:117], v[124:125]
	v_fmac_f64_e32 v[110:111], v[36:37], v[156:157]
	v_mul_f64 v[28:29], v[36:37], v[158:159]
	v_add_f64 v[36:37], v[12:13], v[130:131]
	v_add_f64 v[12:13], v[124:125], v[130:131]
	v_fmac_f64_e32 v[116:117], -0.5, v[12:13]
	v_add_f64 v[12:13], v[128:129], -v[172:173]
	v_fma_f64 v[14:15], s[6:7], v[12:13], v[116:117]
	v_fmac_f64_e32 v[116:117], s[2:3], v[12:13]
	v_add_f64 v[12:13], v[118:119], v[128:129]
	v_fma_f64 v[112:113], v[38:39], v[156:157], -v[28:29]
	v_add_f64 v[38:39], v[12:13], v[172:173]
	v_add_f64 v[12:13], v[128:129], v[172:173]
	v_mul_f64 v[120:121], v[18:19], v[54:55]
	v_fmac_f64_e32 v[118:119], -0.5, v[12:13]
	v_add_f64 v[12:13], v[124:125], -v[130:131]
	v_fmac_f64_e32 v[120:121], v[16:17], v[52:53]
	v_mul_f64 v[16:17], v[16:17], v[54:55]
	v_fma_f64 v[30:31], s[2:3], v[12:13], v[118:119]
	v_fmac_f64_e32 v[118:119], s[6:7], v[12:13]
	v_fma_f64 v[122:123], v[18:19], v[52:53], -v[16:17]
	v_mul_f64 v[42:43], v[30:31], s[6:7]
	v_mul_f64 v[46:47], v[30:31], 0.5
	v_mul_f64 v[52:53], v[118:119], -0.5
	v_add_f64 v[16:17], v[20:21], v[36:37]
	v_fmac_f64_e32 v[42:43], 0.5, v[14:15]
	v_fmac_f64_e32 v[46:47], s[2:3], v[14:15]
	v_fmac_f64_e32 v[52:53], s[2:3], v[116:117]
	v_add_f64 v[40:41], v[20:21], -v[36:37]
	v_add_f64 v[20:21], v[56:57], v[26:27]
	v_add_f64 v[12:13], v[22:23], v[42:43]
	;; [unrolled: 1-line block ×5, first 2 shown]
	v_add_f64 v[36:37], v[22:23], -v[42:43]
	v_add_f64 v[42:43], v[32:33], -v[38:39]
	;; [unrolled: 1-line block ×4, first 2 shown]
	v_add_f64 v[52:53], v[20:21], v[176:177]
	v_add_f64 v[20:21], v[26:27], v[176:177]
	v_fmac_f64_e32 v[56:57], -0.5, v[20:21]
	v_add_f64 v[20:21], v[50:51], -v[178:179]
	v_mul_f64 v[44:45], v[118:119], s[6:7]
	v_fma_f64 v[54:55], s[6:7], v[20:21], v[56:57]
	v_fmac_f64_e32 v[56:57], s[2:3], v[20:21]
	v_add_f64 v[20:21], v[58:59], v[50:51]
	v_fmac_f64_e32 v[44:45], -0.5, v[116:117]
	v_add_f64 v[116:117], v[20:21], v[178:179]
	v_add_f64 v[20:21], v[50:51], v[178:179]
	v_fmac_f64_e32 v[58:59], -0.5, v[20:21]
	v_add_f64 v[20:21], v[26:27], -v[176:177]
	v_fma_f64 v[50:51], s[2:3], v[20:21], v[58:59]
	v_fmac_f64_e32 v[58:59], s[6:7], v[20:21]
	v_add_f64 v[20:21], v[64:65], v[24:25]
	v_add_f64 v[118:119], v[20:21], v[180:181]
	;; [unrolled: 1-line block ×3, first 2 shown]
	v_fmac_f64_e32 v[64:65], -0.5, v[20:21]
	v_add_f64 v[20:21], v[174:175], -v[182:183]
	v_fma_f64 v[22:23], s[6:7], v[20:21], v[64:65]
	v_fmac_f64_e32 v[64:65], s[2:3], v[20:21]
	v_add_f64 v[20:21], v[48:49], v[174:175]
	v_add_f64 v[124:125], v[20:21], v[182:183]
	;; [unrolled: 1-line block ×3, first 2 shown]
	v_fmac_f64_e32 v[48:49], -0.5, v[20:21]
	v_add_f64 v[20:21], v[24:25], -v[180:181]
	v_fma_f64 v[34:35], s[2:3], v[20:21], v[48:49]
	v_fmac_f64_e32 v[48:49], s[6:7], v[20:21]
	v_mul_f64 v[128:129], v[34:35], s[6:7]
	v_mul_f64 v[130:131], v[48:49], s[6:7]
	v_mul_f64 v[142:143], v[48:49], -0.5
	v_fmac_f64_e32 v[128:129], 0.5, v[22:23]
	v_fmac_f64_e32 v[130:131], -0.5, v[64:65]
	v_fmac_f64_e32 v[142:143], s[2:3], v[64:65]
	v_add_f64 v[64:65], v[4:5], v[78:79]
	v_add_f64 v[20:21], v[54:55], v[128:129]
	;; [unrolled: 1-line block ×3, first 2 shown]
	v_add_f64 v[48:49], v[54:55], -v[128:129]
	v_add_f64 v[54:55], v[116:117], -v[124:125]
	v_add_f64 v[116:117], v[64:65], v[72:73]
	v_add_f64 v[64:65], v[78:79], v[72:73]
	v_fmac_f64_e32 v[4:5], -0.5, v[64:65]
	v_add_f64 v[64:65], v[70:71], -v[74:75]
	v_add_f64 v[24:25], v[52:53], v[118:119]
	v_add_f64 v[52:53], v[52:53], -v[118:119]
	v_fma_f64 v[118:119], s[6:7], v[64:65], v[4:5]
	v_fmac_f64_e32 v[4:5], s[2:3], v[64:65]
	v_add_f64 v[64:65], v[6:7], v[70:71]
	v_add_f64 v[124:125], v[64:65], v[74:75]
	v_add_f64 v[64:65], v[70:71], v[74:75]
	v_fmac_f64_e32 v[6:7], -0.5, v[64:65]
	v_add_f64 v[64:65], v[78:79], -v[72:73]
	v_fma_f64 v[74:75], s[2:3], v[64:65], v[6:7]
	v_fmac_f64_e32 v[6:7], s[6:7], v[64:65]
	v_add_f64 v[64:65], v[126:127], v[66:67]
	v_add_f64 v[72:73], v[64:65], v[60:61]
	v_add_f64 v[64:65], v[66:67], v[60:61]
	v_fmac_f64_e32 v[126:127], -0.5, v[64:65]
	;; [unrolled: 7-line block ×3, first 2 shown]
	v_add_f64 v[60:61], v[66:67], -v[60:61]
	v_fma_f64 v[62:63], s[2:3], v[60:61], v[76:77]
	v_mul_f64 v[128:129], v[62:63], s[6:7]
	v_fmac_f64_e32 v[76:77], s[6:7], v[60:61]
	v_fmac_f64_e32 v[128:129], 0.5, v[70:71]
	v_add_f64 v[32:33], v[56:57], v[130:131]
	v_mul_f64 v[140:141], v[34:35], 0.5
	v_add_f64 v[34:35], v[58:59], v[142:143]
	v_add_f64 v[56:57], v[56:57], -v[130:131]
	v_add_f64 v[58:59], v[58:59], -v[142:143]
	v_add_f64 v[64:65], v[116:117], v[72:73]
	v_add_f64 v[60:61], v[118:119], v[128:129]
	v_mul_f64 v[130:131], v[76:77], s[6:7]
	v_mul_f64 v[142:143], v[76:77], -0.5
	v_add_f64 v[76:77], v[116:117], -v[72:73]
	v_add_f64 v[72:73], v[118:119], -v[128:129]
	v_add_f64 v[118:119], v[88:89], v[92:93]
	v_add_f64 v[116:117], v[0:1], v[88:89]
	v_fmac_f64_e32 v[0:1], -0.5, v[118:119]
	v_add_f64 v[118:119], v[98:99], -v[94:95]
	v_add_f64 v[66:67], v[124:125], v[78:79]
	v_add_f64 v[78:79], v[124:125], -v[78:79]
	v_fma_f64 v[124:125], s[6:7], v[118:119], v[0:1]
	v_fmac_f64_e32 v[0:1], s[2:3], v[118:119]
	v_add_f64 v[118:119], v[2:3], v[98:99]
	v_add_f64 v[118:119], v[118:119], v[94:95]
	;; [unrolled: 1-line block ×3, first 2 shown]
	v_fmac_f64_e32 v[2:3], -0.5, v[94:95]
	v_add_f64 v[88:89], v[88:89], -v[92:93]
	v_fma_f64 v[94:95], s[2:3], v[88:89], v[2:3]
	v_fmac_f64_e32 v[2:3], s[6:7], v[88:89]
	v_add_f64 v[88:89], v[90:91], v[80:81]
	v_add_f64 v[116:117], v[116:117], v[92:93]
	;; [unrolled: 1-line block ×4, first 2 shown]
	v_fmac_f64_e32 v[90:91], -0.5, v[88:89]
	v_add_f64 v[88:89], v[82:83], -v[86:87]
	v_fmac_f64_e32 v[140:141], s[2:3], v[22:23]
	v_fma_f64 v[98:99], s[6:7], v[88:89], v[90:91]
	v_fmac_f64_e32 v[90:91], s[2:3], v[88:89]
	v_add_f64 v[88:89], v[96:97], v[82:83]
	v_add_f64 v[82:83], v[82:83], v[86:87]
	;; [unrolled: 1-line block ×3, first 2 shown]
	v_add_f64 v[50:51], v[50:51], -v[140:141]
	v_mul_f64 v[140:141], v[62:63], 0.5
	v_fmac_f64_e32 v[96:97], -0.5, v[82:83]
	v_add_f64 v[80:81], v[80:81], -v[84:85]
	v_fmac_f64_e32 v[140:141], s[2:3], v[70:71]
	v_fma_f64 v[82:83], s[2:3], v[80:81], v[96:97]
	v_fmac_f64_e32 v[130:131], -0.5, v[126:127]
	v_add_f64 v[62:63], v[74:75], v[140:141]
	v_fmac_f64_e32 v[142:143], s[2:3], v[126:127]
	v_add_f64 v[74:75], v[74:75], -v[140:141]
	v_add_f64 v[126:127], v[88:89], v[86:87]
	v_mul_f64 v[128:129], v[82:83], s[6:7]
	v_mul_f64 v[140:141], v[82:83], 0.5
	v_fmac_f64_e32 v[96:97], s[6:7], v[80:81]
	v_fmac_f64_e32 v[128:129], 0.5, v[98:99]
	v_add_f64 v[86:87], v[118:119], v[126:127]
	v_fmac_f64_e32 v[140:141], s[2:3], v[98:99]
	v_add_f64 v[98:99], v[118:119], -v[126:127]
	v_add_f64 v[118:119], v[104:105], v[120:121]
	v_add_f64 v[68:69], v[4:5], v[130:131]
	;; [unrolled: 1-line block ×3, first 2 shown]
	v_add_f64 v[4:5], v[4:5], -v[130:131]
	v_add_f64 v[6:7], v[6:7], -v[142:143]
	v_add_f64 v[84:85], v[116:117], v[92:93]
	v_mul_f64 v[130:131], v[96:97], s[6:7]
	v_mul_f64 v[142:143], v[96:97], -0.5
	v_add_f64 v[96:97], v[116:117], -v[92:93]
	v_add_f64 v[116:117], v[8:9], v[104:105]
	v_fmac_f64_e32 v[8:9], -0.5, v[118:119]
	v_add_f64 v[118:119], v[108:109], -v[122:123]
	v_add_f64 v[80:81], v[124:125], v[128:129]
	v_add_f64 v[92:93], v[124:125], -v[128:129]
	v_fma_f64 v[124:125], s[6:7], v[118:119], v[8:9]
	v_fmac_f64_e32 v[8:9], s[2:3], v[118:119]
	v_add_f64 v[118:119], v[10:11], v[108:109]
	v_add_f64 v[108:109], v[108:109], v[122:123]
	v_fmac_f64_e32 v[10:11], -0.5, v[108:109]
	v_add_f64 v[104:105], v[104:105], -v[120:121]
	v_add_f64 v[116:117], v[116:117], v[120:121]
	v_fma_f64 v[120:121], s[2:3], v[104:105], v[10:11]
	v_fmac_f64_e32 v[10:11], s[6:7], v[104:105]
	v_add_f64 v[104:105], v[110:111], v[100:101]
	v_add_f64 v[118:119], v[118:119], v[122:123]
	;; [unrolled: 1-line block ×4, first 2 shown]
	v_fmac_f64_e32 v[110:111], -0.5, v[104:105]
	v_add_f64 v[104:105], v[102:103], -v[114:115]
	v_fma_f64 v[126:127], s[6:7], v[104:105], v[110:111]
	v_fmac_f64_e32 v[110:111], s[2:3], v[104:105]
	v_add_f64 v[104:105], v[112:113], v[102:103]
	v_add_f64 v[102:103], v[102:103], v[114:115]
	v_fmac_f64_e32 v[112:113], -0.5, v[102:103]
	v_add_f64 v[100:101], v[100:101], -v[106:107]
	v_fma_f64 v[102:103], s[2:3], v[100:101], v[112:113]
	v_add_f64 v[82:83], v[94:95], v[140:141]
	v_add_f64 v[94:95], v[94:95], -v[140:141]
	v_add_f64 v[128:129], v[104:105], v[114:115]
	v_mul_f64 v[114:115], v[102:103], s[6:7]
	v_mul_f64 v[140:141], v[102:103], 0.5
	v_fmac_f64_e32 v[130:131], -0.5, v[90:91]
	v_fmac_f64_e32 v[112:113], s[6:7], v[100:101]
	v_fmac_f64_e32 v[114:115], 0.5, v[126:127]
	v_fmac_f64_e32 v[140:141], s[2:3], v[126:127]
	v_add_f64 v[88:89], v[0:1], v[130:131]
	v_add_f64 v[0:1], v[0:1], -v[130:131]
	v_add_f64 v[100:101], v[124:125], v[114:115]
	v_mul_f64 v[130:131], v[112:113], s[6:7]
	v_add_f64 v[102:103], v[120:121], v[140:141]
	v_mul_f64 v[126:127], v[112:113], -0.5
	v_add_f64 v[112:113], v[124:125], -v[114:115]
	v_add_f64 v[114:115], v[120:121], -v[140:141]
	v_mov_b32_e32 v120, 0x21c0
	v_cndmask_b32_e32 v120, 0, v120, vcc
	v_lshlrev_b32_e32 v121, 4, v148
	v_add3_u32 v120, 0, v120, v121
	v_add_f64 v[28:29], v[168:169], v[44:45]
	v_add_f64 v[44:45], v[168:169], -v[44:45]
	ds_write_b128 v120, v[16:19]
	ds_write_b128 v120, v[12:15] offset:1440
	ds_write_b128 v120, v[28:31] offset:2880
	;; [unrolled: 1-line block ×5, first 2 shown]
	v_mul_u32_u24_e32 v12, 0x21c0, v150
	v_lshlrev_b32_sdwa v13, v162, v149 dst_sel:DWORD dst_unused:UNUSED_PAD src0_sel:DWORD src1_sel:BYTE_0
	v_add3_u32 v12, 0, v12, v13
	ds_write_b128 v12, v[24:27]
	ds_write_b128 v12, v[20:23] offset:1440
	ds_write_b128 v12, v[32:35] offset:2880
	ds_write_b128 v12, v[52:55] offset:4320
	ds_write_b128 v12, v[48:51] offset:5760
	ds_write_b128 v12, v[56:59] offset:7200
	v_mul_u32_u24_e32 v12, 0x21c0, v151
	v_lshlrev_b32_e32 v13, 4, v152
	v_add3_u32 v12, 0, v12, v13
	ds_write_b128 v12, v[64:67]
	ds_write_b128 v12, v[60:63] offset:1440
	ds_write_b128 v12, v[68:71] offset:2880
	;; [unrolled: 1-line block ×5, first 2 shown]
	v_mul_u32_u24_e32 v4, 0x21c0, v153
	v_lshlrev_b32_e32 v5, 4, v154
	v_fmac_f64_e32 v[142:143], s[2:3], v[90:91]
	v_add3_u32 v4, 0, v4, v5
	v_add_f64 v[90:91], v[2:3], v[142:143]
	v_add_f64 v[2:3], v[2:3], -v[142:143]
	ds_write_b128 v4, v[84:87]
	ds_write_b128 v4, v[80:83] offset:1440
	ds_write_b128 v4, v[88:91] offset:2880
	;; [unrolled: 1-line block ×5, first 2 shown]
	v_mul_u32_u24_e32 v0, 0x21c0, v155
	v_lshlrev_b32_e32 v1, 4, v139
	v_add_f64 v[104:105], v[116:117], v[122:123]
	v_fmac_f64_e32 v[130:131], -0.5, v[110:111]
	v_add_f64 v[106:107], v[118:119], v[128:129]
	v_fmac_f64_e32 v[126:127], s[2:3], v[110:111]
	v_add3_u32 v0, 0, v0, v1
	v_add_f64 v[108:109], v[8:9], v[130:131]
	v_add_f64 v[110:111], v[10:11], v[126:127]
	v_add_f64 v[116:117], v[116:117], -v[122:123]
	v_add_f64 v[8:9], v[8:9], -v[130:131]
	;; [unrolled: 1-line block ×4, first 2 shown]
	ds_write_b128 v0, v[104:107]
	ds_write_b128 v0, v[100:103] offset:1440
	ds_write_b128 v0, v[108:111] offset:2880
	;; [unrolled: 1-line block ×5, first 2 shown]
	v_mul_u32_u24_e32 v0, 5, v134
	v_lshlrev_b32_e32 v0, 4, v0
	v_mov_b32_e32 v1, v137
	v_lshl_add_u64 v[120:121], s[4:5], 0, v[0:1]
	v_add_co_u32_e32 v0, vcc, s24, v120
	s_waitcnt lgkmcnt(0)
	s_nop 0
	v_addc_co_u32_e32 v1, vcc, 0, v121, vcc
	s_barrier
	global_load_dwordx4 v[100:103], v[0:1], off offset:400
	v_lshl_add_u64 v[2:3], v[120:121], 0, s[8:9]
	global_load_dwordx4 v[104:107], v[2:3], off offset:16
	global_load_dwordx4 v[88:91], v[2:3], off offset:32
	;; [unrolled: 1-line block ×4, first 2 shown]
	v_mul_u32_u24_e32 v60, 5, v136
	v_add_co_u32_e32 v56, vcc, s25, v120
	v_lshlrev_b32_e32 v136, 4, v60
	s_nop 0
	v_addc_co_u32_e32 v57, vcc, 0, v121, vcc
	v_lshl_add_u64 v[68:69], s[4:5], 0, v[136:137]
	ds_read_b128 v[108:111], v160 offset:8640
	ds_read_b128 v[44:47], v160 offset:10368
	v_add_co_u32_e32 v140, vcc, s24, v68
	global_load_dwordx4 v[52:55], v[56:57], off offset:848
	v_lshl_add_u64 v[0:1], v[120:121], 0, s[10:11]
	global_load_dwordx4 v[64:67], v[0:1], off offset:16
	v_addc_co_u32_e32 v141, vcc, 0, v69, vcc
	ds_read_b128 v[112:115], v160 offset:25920
	ds_read_b128 v[28:31], v160 offset:27648
	;; [unrolled: 1-line block ×6, first 2 shown]
	global_load_dwordx4 v[32:35], v[0:1], off offset:48
	global_load_dwordx4 v[40:43], v[0:1], off offset:32
	ds_read_b128 v[36:39], v160 offset:36288
	ds_read_b128 v[12:15], v160 offset:38016
	ds_read_b128 v[4:7], v161
	ds_read_b128 v[0:3], v135
	ds_read_b128 v[24:27], v160 offset:12096
	ds_read_b128 v[8:11], v160 offset:13824
	global_load_dwordx4 v[56:59], v[56:57], off offset:912
	v_lshl_add_u64 v[126:127], v[68:69], 0, s[8:9]
	global_load_dwordx4 v[92:95], v[140:141], off offset:400
	ds_read_b128 v[116:119], v160 offset:17280
	ds_read_b128 v[60:63], v160 offset:15552
	global_load_dwordx4 v[84:87], v[126:127], off offset:32
	global_load_dwordx4 v[96:99], v[126:127], off offset:16
	ds_read_b128 v[144:147], v160 offset:34560
	ds_read_b128 v[68:71], v160 offset:32832
	s_waitcnt vmcnt(11) lgkmcnt(3)
	v_mul_f64 v[128:129], v[118:119], v[106:107]
	v_mul_f64 v[122:123], v[110:111], v[102:103]
	v_fmac_f64_e32 v[122:123], v[108:109], v[100:101]
	v_mul_f64 v[102:103], v[108:109], v[102:103]
	v_mul_u32_u24_e32 v108, 5, v138
	v_lshlrev_b32_e32 v136, 4, v108
	v_fma_f64 v[124:125], v[110:111], v[100:101], -v[102:103]
	v_fmac_f64_e32 v[128:129], v[116:117], v[104:105]
	v_mul_f64 v[100:101], v[116:117], v[106:107]
	v_lshl_add_u64 v[116:117], s[4:5], 0, v[136:137]
	v_add_co_u32_e32 v148, vcc, s24, v116
	v_fma_f64 v[130:131], v[118:119], v[104:105], -v[100:101]
	s_nop 0
	v_addc_co_u32_e32 v149, vcc, 0, v117, vcc
	global_load_dwordx4 v[100:103], v[126:127], off offset:48
	global_load_dwordx4 v[108:111], v[148:149], off offset:400
	s_waitcnt vmcnt(12)
	v_mul_f64 v[126:127], v[114:115], v[90:91]
	v_fmac_f64_e32 v[126:127], v[112:113], v[88:89]
	v_mul_f64 v[90:91], v[112:113], v[90:91]
	v_lshl_add_u64 v[112:113], v[116:117], 0, s[8:9]
	global_load_dwordx4 v[104:107], v[140:141], off offset:464
	global_load_dwordx4 v[116:119], v[112:113], off offset:16
	s_waitcnt vmcnt(12)
	v_mul_f64 v[140:141], v[78:79], v[50:51]
	s_mov_b32 s4, 0xa000
	s_waitcnt lgkmcnt(1)
	v_mul_f64 v[142:143], v[146:147], v[82:83]
	v_mul_f64 v[82:83], v[144:145], v[82:83]
	v_fmac_f64_e32 v[140:141], v[76:77], v[48:49]
	v_mul_f64 v[50:51], v[76:77], v[50:51]
	v_add_co_u32_e32 v76, vcc, s4, v120
	s_mov_b64 s[4:5], 0xa890
	v_fmac_f64_e32 v[142:143], v[144:145], v[80:81]
	v_fma_f64 v[144:145], v[146:147], v[80:81], -v[82:83]
	v_addc_co_u32_e32 v77, vcc, 0, v121, vcc
	v_lshl_add_u64 v[80:81], v[120:121], 0, s[4:5]
	v_fma_f64 v[138:139], v[114:115], v[88:89], -v[90:91]
	global_load_dwordx4 v[88:91], v[112:113], off offset:48
	s_nop 0
	global_load_dwordx4 v[112:115], v[112:113], off offset:32
	v_fma_f64 v[154:155], v[78:79], v[48:49], -v[50:51]
	global_load_dwordx4 v[156:159], v[148:149], off offset:464
	global_load_dwordx4 v[162:165], v[76:77], off offset:2192
	;; [unrolled: 1-line block ×6, first 2 shown]
	s_waitcnt vmcnt(19)
	v_mul_f64 v[48:49], v[46:47], v[54:55]
	v_fmac_f64_e32 v[48:49], v[44:45], v[52:53]
	v_mul_f64 v[44:45], v[44:45], v[54:55]
	v_fma_f64 v[46:47], v[46:47], v[52:53], -v[44:45]
	ds_read_b128 v[76:79], v160 offset:29376
	ds_read_b128 v[182:185], v160 offset:31104
	s_waitcnt vmcnt(16)
	v_mul_f64 v[52:53], v[30:31], v[42:43]
	v_fmac_f64_e32 v[52:53], v[28:29], v[40:41]
	v_mul_f64 v[28:29], v[28:29], v[42:43]
	v_mul_f64 v[42:43], v[38:39], v[34:35]
	v_fma_f64 v[40:41], v[30:31], v[40:41], -v[28:29]
	v_fmac_f64_e32 v[42:43], v[36:37], v[32:33]
	v_mul_f64 v[28:29], v[36:37], v[34:35]
	s_waitcnt vmcnt(15)
	v_mul_f64 v[36:37], v[18:19], v[58:59]
	s_waitcnt vmcnt(12)
	v_mul_f64 v[146:147], v[22:23], v[98:99]
	v_mul_f64 v[44:45], v[74:75], v[66:67]
	v_fmac_f64_e32 v[36:37], v[16:17], v[56:57]
	v_mul_f64 v[16:17], v[16:17], v[58:59]
	v_fmac_f64_e32 v[146:147], v[20:21], v[96:97]
	;; [unrolled: 2-line block ×3, first 2 shown]
	v_mul_f64 v[50:51], v[72:73], v[66:67]
	v_fma_f64 v[54:55], v[38:39], v[32:33], -v[28:29]
	v_fma_f64 v[38:39], v[18:19], v[56:57], -v[16:17]
	v_mul_f64 v[72:73], v[26:27], v[94:95]
	v_mul_f64 v[16:17], v[24:25], v[94:95]
	v_fma_f64 v[148:149], v[22:23], v[96:97], -v[20:21]
	s_waitcnt lgkmcnt(1)
	v_mul_f64 v[20:21], v[76:77], v[86:87]
	v_fma_f64 v[50:51], v[74:75], v[64:65], -v[50:51]
	ds_read_b128 v[28:31], v160 offset:46656
	ds_read_b128 v[32:35], v160 offset:48384
	v_fmac_f64_e32 v[72:73], v[24:25], v[92:93]
	v_fma_f64 v[74:75], v[26:27], v[92:93], -v[16:17]
	ds_read_b128 v[56:59], v160 offset:1728
	ds_read_b128 v[16:19], v160 offset:6912
	v_fma_f64 v[66:67], v[78:79], v[84:85], -v[20:21]
	ds_read_b128 v[20:23], v160 offset:22464
	ds_read_b128 v[24:27], v160 offset:24192
	v_mul_f64 v[64:65], v[78:79], v[86:87]
	v_fmac_f64_e32 v[64:65], v[76:77], v[84:85]
	s_waitcnt vmcnt(11)
	v_mul_f64 v[150:151], v[14:15], v[102:103]
	s_waitcnt vmcnt(10)
	v_mul_f64 v[92:93], v[10:11], v[110:111]
	v_fmac_f64_e32 v[150:151], v[12:13], v[100:101]
	v_mul_f64 v[12:13], v[12:13], v[102:103]
	v_fmac_f64_e32 v[92:93], v[8:9], v[108:109]
	v_mul_f64 v[8:9], v[8:9], v[110:111]
	v_fma_f64 v[152:153], v[14:15], v[100:101], -v[12:13]
	s_waitcnt vmcnt(9) lgkmcnt(5)
	v_mul_f64 v[76:77], v[30:31], v[106:107]
	v_mul_f64 v[12:13], v[28:29], v[106:107]
	v_fma_f64 v[94:95], v[10:11], v[108:109], -v[8:9]
	s_waitcnt vmcnt(8) lgkmcnt(1)
	v_mul_f64 v[8:9], v[20:21], v[118:119]
	v_fmac_f64_e32 v[76:77], v[28:29], v[104:105]
	v_fma_f64 v[78:79], v[30:31], v[104:105], -v[12:13]
	ds_read_b128 v[12:15], v160 offset:39744
	ds_read_b128 v[28:31], v160 offset:41472
	v_fma_f64 v[98:99], v[22:23], v[116:117], -v[8:9]
	ds_read_b128 v[186:189], v160
	ds_read_b128 v[8:11], v160 offset:50112
	v_mul_f64 v[96:97], v[22:23], v[118:119]
	v_fmac_f64_e32 v[96:97], v[20:21], v[116:117]
	s_waitcnt lgkmcnt(0)
	s_barrier
	s_waitcnt vmcnt(7)
	v_mul_f64 v[120:121], v[14:15], v[90:91]
	v_fmac_f64_e32 v[120:121], v[12:13], v[88:89]
	v_mul_f64 v[12:13], v[12:13], v[90:91]
	v_fma_f64 v[88:89], v[14:15], v[88:89], -v[12:13]
	s_waitcnt vmcnt(5)
	v_mul_f64 v[12:13], v[32:33], v[158:159]
	v_mul_f64 v[80:81], v[184:185], v[114:115]
	;; [unrolled: 1-line block ×3, first 2 shown]
	s_waitcnt vmcnt(0)
	v_mul_f64 v[116:117], v[10:11], v[180:181]
	v_fmac_f64_e32 v[116:117], v[8:9], v[178:179]
	v_mul_f64 v[8:9], v[8:9], v[180:181]
	v_fma_f64 v[86:87], v[34:35], v[156:157], -v[12:13]
	v_mul_f64 v[12:13], v[60:61], v[164:165]
	v_mul_f64 v[104:105], v[26:27], v[172:173]
	v_fma_f64 v[118:119], v[10:11], v[178:179], -v[8:9]
	v_add_f64 v[8:9], v[186:187], v[128:129]
	v_fmac_f64_e32 v[80:81], v[182:183], v[112:113]
	v_fma_f64 v[82:83], v[184:185], v[112:113], -v[20:21]
	v_fma_f64 v[112:113], v[62:63], v[162:163], -v[12:13]
	v_fmac_f64_e32 v[104:105], v[24:25], v[170:171]
	v_mul_f64 v[12:13], v[24:25], v[172:173]
	v_add_f64 v[24:25], v[8:9], v[142:143]
	v_add_f64 v[8:9], v[128:129], v[142:143]
	v_fma_f64 v[106:107], v[26:27], v[170:171], -v[12:13]
	v_mul_f64 v[12:13], v[68:69], v[168:169]
	v_fmac_f64_e32 v[186:187], -0.5, v[8:9]
	v_add_f64 v[8:9], v[130:131], -v[144:145]
	v_fma_f64 v[102:103], v[70:71], v[166:167], -v[12:13]
	v_mul_f64 v[12:13], v[28:29], v[176:177]
	v_fma_f64 v[26:27], s[6:7], v[8:9], v[186:187]
	v_fmac_f64_e32 v[186:187], s[2:3], v[8:9]
	v_add_f64 v[8:9], v[188:189], v[130:131]
	v_mul_f64 v[108:109], v[30:31], v[176:177]
	v_fma_f64 v[114:115], v[30:31], v[174:175], -v[12:13]
	v_add_f64 v[30:31], v[8:9], v[144:145]
	v_add_f64 v[8:9], v[130:131], v[144:145]
	v_fmac_f64_e32 v[188:189], -0.5, v[8:9]
	v_add_f64 v[8:9], v[128:129], -v[142:143]
	v_mul_f64 v[84:85], v[34:35], v[158:159]
	v_fma_f64 v[34:35], s[2:3], v[8:9], v[188:189]
	v_fmac_f64_e32 v[188:189], s[6:7], v[8:9]
	v_add_f64 v[8:9], v[122:123], v[126:127]
	v_fmac_f64_e32 v[108:109], v[28:29], v[174:175]
	v_add_f64 v[28:29], v[8:9], v[140:141]
	v_add_f64 v[8:9], v[126:127], v[140:141]
	v_fmac_f64_e32 v[122:123], -0.5, v[8:9]
	v_add_f64 v[8:9], v[138:139], -v[154:155]
	v_mul_f64 v[110:111], v[62:63], v[164:165]
	v_fma_f64 v[10:11], s[6:7], v[8:9], v[122:123]
	v_fmac_f64_e32 v[122:123], s[2:3], v[8:9]
	v_add_f64 v[8:9], v[124:125], v[138:139]
	v_fmac_f64_e32 v[110:111], v[60:61], v[162:163]
	v_add_f64 v[60:61], v[8:9], v[154:155]
	v_add_f64 v[8:9], v[138:139], v[154:155]
	v_fmac_f64_e32 v[124:125], -0.5, v[8:9]
	v_add_f64 v[8:9], v[126:127], -v[140:141]
	v_fma_f64 v[22:23], s[2:3], v[8:9], v[124:125]
	v_fmac_f64_e32 v[124:125], s[6:7], v[8:9]
	v_fmac_f64_e32 v[84:85], v[32:33], v[156:157]
	v_mul_f64 v[32:33], v[22:23], s[6:7]
	v_mul_f64 v[62:63], v[124:125], s[6:7]
	;; [unrolled: 1-line block ×3, first 2 shown]
	v_fmac_f64_e32 v[32:33], 0.5, v[10:11]
	v_fmac_f64_e32 v[62:63], -0.5, v[122:123]
	v_fmac_f64_e32 v[100:101], v[68:69], v[166:167]
	v_add_f64 v[12:13], v[24:25], v[28:29]
	v_add_f64 v[8:9], v[26:27], v[32:33]
	;; [unrolled: 1-line block ×3, first 2 shown]
	v_mul_f64 v[68:69], v[22:23], 0.5
	v_add_f64 v[28:29], v[24:25], -v[28:29]
	v_add_f64 v[24:25], v[26:27], -v[32:33]
	;; [unrolled: 1-line block ×3, first 2 shown]
	v_add_f64 v[62:63], v[44:45], v[42:43]
	v_add_f64 v[14:15], v[30:31], v[60:61]
	v_fmac_f64_e32 v[68:69], s[2:3], v[10:11]
	v_add_f64 v[30:31], v[30:31], -v[60:61]
	v_add_f64 v[60:61], v[56:57], v[44:45]
	v_fmac_f64_e32 v[56:57], -0.5, v[62:63]
	v_add_f64 v[62:63], v[50:51], -v[54:55]
	v_add_f64 v[10:11], v[34:35], v[68:69]
	v_add_f64 v[26:27], v[34:35], -v[68:69]
	v_fma_f64 v[68:69], s[6:7], v[62:63], v[56:57]
	v_fmac_f64_e32 v[56:57], s[2:3], v[62:63]
	v_add_f64 v[62:63], v[58:59], v[50:51]
	v_add_f64 v[50:51], v[50:51], v[54:55]
	;; [unrolled: 1-line block ×3, first 2 shown]
	v_fmac_f64_e32 v[58:59], -0.5, v[50:51]
	v_add_f64 v[42:43], v[44:45], -v[42:43]
	v_fma_f64 v[50:51], s[2:3], v[42:43], v[58:59]
	v_fmac_f64_e32 v[58:59], s[6:7], v[42:43]
	v_add_f64 v[42:43], v[48:49], v[52:53]
	v_mul_f64 v[70:71], v[124:125], -0.5
	v_add_f64 v[62:63], v[62:63], v[54:55]
	v_add_f64 v[54:55], v[42:43], v[36:37]
	;; [unrolled: 1-line block ×3, first 2 shown]
	v_fmac_f64_e32 v[70:71], s[2:3], v[122:123]
	v_fmac_f64_e32 v[48:49], -0.5, v[42:43]
	v_add_f64 v[42:43], v[40:41], -v[38:39]
	v_add_f64 v[22:23], v[188:189], v[70:71]
	v_add_f64 v[34:35], v[188:189], -v[70:71]
	v_fma_f64 v[70:71], s[6:7], v[42:43], v[48:49]
	v_fmac_f64_e32 v[48:49], s[2:3], v[42:43]
	v_add_f64 v[42:43], v[46:47], v[40:41]
	v_add_f64 v[90:91], v[42:43], v[38:39]
	;; [unrolled: 1-line block ×3, first 2 shown]
	v_fmac_f64_e32 v[46:47], -0.5, v[38:39]
	v_add_f64 v[36:37], v[52:53], -v[36:37]
	v_fma_f64 v[38:39], s[2:3], v[36:37], v[46:47]
	v_add_f64 v[40:41], v[60:61], v[54:55]
	v_add_f64 v[52:53], v[60:61], -v[54:55]
	v_add_f64 v[60:61], v[4:5], v[146:147]
	v_fmac_f64_e32 v[46:47], s[6:7], v[36:37]
	v_mul_f64 v[122:123], v[38:39], s[6:7]
	v_add_f64 v[42:43], v[62:63], v[90:91]
	v_mul_f64 v[126:127], v[38:39], 0.5
	v_add_f64 v[54:55], v[62:63], -v[90:91]
	v_add_f64 v[90:91], v[60:61], v[150:151]
	v_add_f64 v[60:61], v[146:147], v[150:151]
	v_fmac_f64_e32 v[122:123], 0.5, v[70:71]
	v_mul_f64 v[124:125], v[46:47], s[6:7]
	v_fmac_f64_e32 v[126:127], s[2:3], v[70:71]
	v_mul_f64 v[70:71], v[46:47], -0.5
	v_fmac_f64_e32 v[4:5], -0.5, v[60:61]
	v_add_f64 v[60:61], v[148:149], -v[152:153]
	v_add_f64 v[36:37], v[68:69], v[122:123]
	v_fmac_f64_e32 v[124:125], -0.5, v[48:49]
	v_fmac_f64_e32 v[70:71], s[2:3], v[48:49]
	v_add_f64 v[48:49], v[68:69], -v[122:123]
	v_fma_f64 v[122:123], s[6:7], v[60:61], v[4:5]
	v_fmac_f64_e32 v[4:5], s[2:3], v[60:61]
	v_add_f64 v[60:61], v[6:7], v[148:149]
	v_add_f64 v[44:45], v[56:57], v[124:125]
	v_add_f64 v[56:57], v[56:57], -v[124:125]
	v_add_f64 v[124:125], v[60:61], v[152:153]
	v_add_f64 v[60:61], v[148:149], v[152:153]
	v_fmac_f64_e32 v[6:7], -0.5, v[60:61]
	v_add_f64 v[60:61], v[146:147], -v[150:151]
	v_add_f64 v[38:39], v[50:51], v[126:127]
	v_add_f64 v[50:51], v[50:51], -v[126:127]
	v_fma_f64 v[126:127], s[2:3], v[60:61], v[6:7]
	v_fmac_f64_e32 v[6:7], s[6:7], v[60:61]
	v_add_f64 v[60:61], v[72:73], v[64:65]
	v_add_f64 v[128:129], v[60:61], v[76:77]
	;; [unrolled: 1-line block ×3, first 2 shown]
	v_fmac_f64_e32 v[72:73], -0.5, v[60:61]
	v_add_f64 v[60:61], v[66:67], -v[78:79]
	v_fma_f64 v[62:63], s[6:7], v[60:61], v[72:73]
	v_fmac_f64_e32 v[72:73], s[2:3], v[60:61]
	v_add_f64 v[60:61], v[74:75], v[66:67]
	v_add_f64 v[130:131], v[60:61], v[78:79]
	;; [unrolled: 1-line block ×3, first 2 shown]
	v_fmac_f64_e32 v[74:75], -0.5, v[60:61]
	v_add_f64 v[60:61], v[64:65], -v[76:77]
	v_add_f64 v[46:47], v[58:59], v[70:71]
	v_add_f64 v[58:59], v[58:59], -v[70:71]
	v_fma_f64 v[70:71], s[2:3], v[60:61], v[74:75]
	v_fmac_f64_e32 v[74:75], s[6:7], v[60:61]
	v_mul_f64 v[78:79], v[70:71], s[6:7]
	v_add_f64 v[64:65], v[90:91], v[128:129]
	v_fmac_f64_e32 v[78:79], 0.5, v[62:63]
	v_mul_f64 v[138:139], v[74:75], s[6:7]
	v_mul_f64 v[142:143], v[74:75], -0.5
	v_add_f64 v[76:77], v[90:91], -v[128:129]
	v_add_f64 v[90:91], v[0:1], v[96:97]
	v_add_f64 v[60:61], v[122:123], v[78:79]
	v_fmac_f64_e32 v[138:139], -0.5, v[72:73]
	v_fmac_f64_e32 v[142:143], s[2:3], v[72:73]
	v_add_f64 v[72:73], v[122:123], -v[78:79]
	v_add_f64 v[122:123], v[90:91], v[120:121]
	v_add_f64 v[90:91], v[96:97], v[120:121]
	v_mul_f64 v[140:141], v[70:71], 0.5
	v_fmac_f64_e32 v[0:1], -0.5, v[90:91]
	v_add_f64 v[90:91], v[98:99], -v[88:89]
	v_add_f64 v[66:67], v[124:125], v[130:131]
	v_fmac_f64_e32 v[140:141], s[2:3], v[62:63]
	v_add_f64 v[78:79], v[124:125], -v[130:131]
	v_fma_f64 v[124:125], s[6:7], v[90:91], v[0:1]
	v_fmac_f64_e32 v[0:1], s[2:3], v[90:91]
	v_add_f64 v[90:91], v[2:3], v[98:99]
	v_add_f64 v[62:63], v[126:127], v[140:141]
	v_add_f64 v[74:75], v[126:127], -v[140:141]
	v_add_f64 v[126:127], v[90:91], v[88:89]
	v_add_f64 v[88:89], v[98:99], v[88:89]
	v_fmac_f64_e32 v[2:3], -0.5, v[88:89]
	v_add_f64 v[88:89], v[96:97], -v[120:121]
	v_fma_f64 v[120:121], s[2:3], v[88:89], v[2:3]
	v_fmac_f64_e32 v[2:3], s[6:7], v[88:89]
	v_add_f64 v[88:89], v[92:93], v[80:81]
	v_add_f64 v[96:97], v[88:89], v[84:85]
	v_add_f64 v[88:89], v[80:81], v[84:85]
	v_fmac_f64_e32 v[92:93], -0.5, v[88:89]
	v_add_f64 v[88:89], v[82:83], -v[86:87]
	v_fma_f64 v[90:91], s[6:7], v[88:89], v[92:93]
	v_fmac_f64_e32 v[92:93], s[2:3], v[88:89]
	v_add_f64 v[88:89], v[94:95], v[82:83]
	v_add_f64 v[82:83], v[82:83], v[86:87]
	v_fmac_f64_e32 v[94:95], -0.5, v[82:83]
	v_add_f64 v[80:81], v[80:81], -v[84:85]
	v_fma_f64 v[82:83], s[2:3], v[80:81], v[94:95]
	v_add_f64 v[68:69], v[4:5], v[138:139]
	v_add_f64 v[4:5], v[4:5], -v[138:139]
	v_mul_f64 v[138:139], v[82:83], 0.5
	v_fmac_f64_e32 v[94:95], s[6:7], v[80:81]
	v_add_f64 v[84:85], v[122:123], v[96:97]
	v_mul_f64 v[128:129], v[82:83], s[6:7]
	v_fmac_f64_e32 v[138:139], s[2:3], v[90:91]
	v_add_f64 v[96:97], v[122:123], -v[96:97]
	v_add_f64 v[122:123], v[104:105], v[108:109]
	v_fmac_f64_e32 v[128:129], 0.5, v[90:91]
	v_mul_f64 v[130:131], v[94:95], s[6:7]
	v_add_f64 v[82:83], v[120:121], v[138:139]
	v_mul_f64 v[140:141], v[94:95], -0.5
	v_add_f64 v[94:95], v[120:121], -v[138:139]
	v_add_f64 v[120:121], v[16:17], v[104:105]
	v_fmac_f64_e32 v[16:17], -0.5, v[122:123]
	v_add_f64 v[122:123], v[106:107], -v[114:115]
	v_add_f64 v[80:81], v[124:125], v[128:129]
	v_fmac_f64_e32 v[130:131], -0.5, v[92:93]
	v_fmac_f64_e32 v[140:141], s[2:3], v[92:93]
	v_add_f64 v[92:93], v[124:125], -v[128:129]
	v_fma_f64 v[124:125], s[6:7], v[122:123], v[16:17]
	v_fmac_f64_e32 v[16:17], s[2:3], v[122:123]
	v_add_f64 v[122:123], v[18:19], v[106:107]
	v_add_f64 v[106:107], v[106:107], v[114:115]
	v_fmac_f64_e32 v[18:19], -0.5, v[106:107]
	v_add_f64 v[104:105], v[104:105], -v[108:109]
	v_add_f64 v[98:99], v[88:89], v[86:87]
	v_add_f64 v[122:123], v[122:123], v[114:115]
	v_fma_f64 v[114:115], s[2:3], v[104:105], v[18:19]
	v_fmac_f64_e32 v[18:19], s[6:7], v[104:105]
	v_add_f64 v[104:105], v[110:111], v[100:101]
	v_add_f64 v[86:87], v[126:127], v[98:99]
	v_add_f64 v[98:99], v[126:127], -v[98:99]
	v_add_f64 v[126:127], v[104:105], v[116:117]
	v_add_f64 v[104:105], v[100:101], v[116:117]
	v_fmac_f64_e32 v[110:111], -0.5, v[104:105]
	v_add_f64 v[104:105], v[102:103], -v[118:119]
	v_fma_f64 v[128:129], s[6:7], v[104:105], v[110:111]
	v_fmac_f64_e32 v[110:111], s[2:3], v[104:105]
	v_add_f64 v[104:105], v[112:113], v[102:103]
	v_add_f64 v[102:103], v[102:103], v[118:119]
	v_fmac_f64_e32 v[112:113], -0.5, v[102:103]
	v_add_f64 v[100:101], v[100:101], -v[116:117]
	v_fma_f64 v[102:103], s[2:3], v[100:101], v[112:113]
	v_add_f64 v[88:89], v[0:1], v[130:131]
	v_add_f64 v[90:91], v[2:3], v[140:141]
	v_add_f64 v[0:1], v[0:1], -v[130:131]
	v_add_f64 v[2:3], v[2:3], -v[140:141]
	v_add_f64 v[130:131], v[104:105], v[118:119]
	v_fmac_f64_e32 v[112:113], s[6:7], v[100:101]
	v_mul_f64 v[118:119], v[102:103], s[6:7]
	v_mul_f64 v[140:141], v[102:103], 0.5
	v_fmac_f64_e32 v[118:119], 0.5, v[128:129]
	v_mul_f64 v[138:139], v[112:113], s[6:7]
	v_fmac_f64_e32 v[140:141], s[2:3], v[128:129]
	v_mul_f64 v[128:129], v[112:113], -0.5
	v_add_f64 v[120:121], v[120:121], v[108:109]
	v_fmac_f64_e32 v[138:139], -0.5, v[110:111]
	v_fmac_f64_e32 v[128:129], s[2:3], v[110:111]
	v_add_f64 v[70:71], v[6:7], v[142:143]
	v_add_f64 v[6:7], v[6:7], -v[142:143]
	v_add_f64 v[104:105], v[120:121], v[126:127]
	v_add_f64 v[100:101], v[124:125], v[118:119]
	;; [unrolled: 1-line block ×6, first 2 shown]
	v_add_f64 v[116:117], v[120:121], -v[126:127]
	v_add_f64 v[112:113], v[124:125], -v[118:119]
	;; [unrolled: 1-line block ×6, first 2 shown]
	ds_write_b128 v160, v[12:15]
	ds_write_b128 v160, v[8:11] offset:8640
	ds_write_b128 v160, v[20:23] offset:17280
	;; [unrolled: 1-line block ×11, first 2 shown]
	ds_write_b128 v161, v[64:67]
	ds_write_b128 v161, v[60:63] offset:8640
	ds_write_b128 v161, v[68:71] offset:17280
	;; [unrolled: 1-line block ×5, first 2 shown]
	ds_write_b128 v135, v[84:87]
	ds_write_b128 v135, v[80:83] offset:8640
	ds_write_b128 v135, v[88:91] offset:17280
	;; [unrolled: 1-line block ×11, first 2 shown]
	s_waitcnt lgkmcnt(0)
	s_barrier
	s_and_saveexec_b64 s[2:3], s[0:1]
	s_cbranch_execz .LBB0_19
; %bb.18:
	v_lshl_add_u32 v14, v134, 4, 0
	ds_read_b128 v[0:3], v14
	v_mov_b32_e32 v135, v137
	v_lshl_add_u64 v[12:13], v[134:135], 4, v[132:133]
	ds_read_b128 v[4:7], v14 offset:50112
	ds_read_b128 v[8:11], v14 offset:1728
	v_add_u32_e32 v136, 0x6c, v134
	s_waitcnt lgkmcnt(2)
	global_store_dwordx4 v[12:13], v[0:3], off
	ds_read_b128 v[0:3], v14 offset:3456
	v_lshl_add_u64 v[12:13], v[136:137], 4, v[132:133]
	v_add_u32_e32 v136, 0xd8, v134
	s_waitcnt lgkmcnt(1)
	global_store_dwordx4 v[12:13], v[8:11], off
	ds_read_b128 v[8:11], v14 offset:5184
	v_lshl_add_u64 v[12:13], v[136:137], 4, v[132:133]
	s_waitcnt lgkmcnt(1)
	global_store_dwordx4 v[12:13], v[0:3], off
	ds_read_b128 v[0:3], v14 offset:6912
	v_add_u32_e32 v136, 0x144, v134
	v_lshl_add_u64 v[12:13], v[136:137], 4, v[132:133]
	v_add_u32_e32 v136, 0x1b0, v134
	s_waitcnt lgkmcnt(1)
	global_store_dwordx4 v[12:13], v[8:11], off
	ds_read_b128 v[8:11], v14 offset:8640
	v_lshl_add_u64 v[12:13], v[136:137], 4, v[132:133]
	s_waitcnt lgkmcnt(1)
	global_store_dwordx4 v[12:13], v[0:3], off
	ds_read_b128 v[0:3], v14 offset:10368
	v_add_u32_e32 v136, 0x21c, v134
	;; [unrolled: 10-line block ×8, first 2 shown]
	v_lshl_add_u64 v[12:13], v[136:137], 4, v[132:133]
	v_add_u32_e32 v136, 0x798, v134
	s_waitcnt lgkmcnt(1)
	global_store_dwordx4 v[12:13], v[8:11], off
	v_lshl_add_u64 v[12:13], v[136:137], 4, v[132:133]
	ds_read_b128 v[8:11], v14 offset:32832
	s_waitcnt lgkmcnt(1)
	global_store_dwordx4 v[12:13], v[0:3], off
	ds_read_b128 v[0:3], v14 offset:34560
	v_add_u32_e32 v136, 0x804, v134
	v_lshl_add_u64 v[12:13], v[136:137], 4, v[132:133]
	v_add_u32_e32 v136, 0x870, v134
	s_waitcnt lgkmcnt(1)
	global_store_dwordx4 v[12:13], v[8:11], off
	v_lshl_add_u64 v[12:13], v[136:137], 4, v[132:133]
	ds_read_b128 v[8:11], v14 offset:36288
	s_waitcnt lgkmcnt(1)
	global_store_dwordx4 v[12:13], v[0:3], off
	ds_read_b128 v[0:3], v14 offset:38016
	v_add_u32_e32 v136, 0x8dc, v134
	;; [unrolled: 10-line block ×5, first 2 shown]
	v_lshl_add_u64 v[12:13], v[136:137], 4, v[132:133]
	v_add_u32_e32 v136, 0xbd0, v134
	s_waitcnt lgkmcnt(1)
	global_store_dwordx4 v[12:13], v[8:11], off
	s_nop 1
	v_lshl_add_u64 v[8:9], v[136:137], 4, v[132:133]
	v_add_u32_e32 v136, 0xc3c, v134
	s_waitcnt lgkmcnt(0)
	global_store_dwordx4 v[8:9], v[0:3], off
	s_nop 1
	v_lshl_add_u64 v[0:1], v[136:137], 4, v[132:133]
	global_store_dwordx4 v[0:1], v[4:7], off
.LBB0_19:
	s_endpgm
	.section	.rodata,"a",@progbits
	.p2align	6, 0x0
	.amdhsa_kernel fft_rtc_back_len3240_factors_3_3_10_6_6_wgs_108_tpt_108_halfLds_dp_ip_CI_unitstride_sbrr_C2R_dirReg
		.amdhsa_group_segment_fixed_size 0
		.amdhsa_private_segment_fixed_size 0
		.amdhsa_kernarg_size 88
		.amdhsa_user_sgpr_count 2
		.amdhsa_user_sgpr_dispatch_ptr 0
		.amdhsa_user_sgpr_queue_ptr 0
		.amdhsa_user_sgpr_kernarg_segment_ptr 1
		.amdhsa_user_sgpr_dispatch_id 0
		.amdhsa_user_sgpr_kernarg_preload_length 0
		.amdhsa_user_sgpr_kernarg_preload_offset 0
		.amdhsa_user_sgpr_private_segment_size 0
		.amdhsa_uses_dynamic_stack 0
		.amdhsa_enable_private_segment 0
		.amdhsa_system_sgpr_workgroup_id_x 1
		.amdhsa_system_sgpr_workgroup_id_y 0
		.amdhsa_system_sgpr_workgroup_id_z 0
		.amdhsa_system_sgpr_workgroup_info 0
		.amdhsa_system_vgpr_workitem_id 0
		.amdhsa_next_free_vgpr 190
		.amdhsa_next_free_sgpr 26
		.amdhsa_accum_offset 192
		.amdhsa_reserve_vcc 1
		.amdhsa_float_round_mode_32 0
		.amdhsa_float_round_mode_16_64 0
		.amdhsa_float_denorm_mode_32 3
		.amdhsa_float_denorm_mode_16_64 3
		.amdhsa_dx10_clamp 1
		.amdhsa_ieee_mode 1
		.amdhsa_fp16_overflow 0
		.amdhsa_tg_split 0
		.amdhsa_exception_fp_ieee_invalid_op 0
		.amdhsa_exception_fp_denorm_src 0
		.amdhsa_exception_fp_ieee_div_zero 0
		.amdhsa_exception_fp_ieee_overflow 0
		.amdhsa_exception_fp_ieee_underflow 0
		.amdhsa_exception_fp_ieee_inexact 0
		.amdhsa_exception_int_div_zero 0
	.end_amdhsa_kernel
	.text
.Lfunc_end0:
	.size	fft_rtc_back_len3240_factors_3_3_10_6_6_wgs_108_tpt_108_halfLds_dp_ip_CI_unitstride_sbrr_C2R_dirReg, .Lfunc_end0-fft_rtc_back_len3240_factors_3_3_10_6_6_wgs_108_tpt_108_halfLds_dp_ip_CI_unitstride_sbrr_C2R_dirReg
                                        ; -- End function
	.section	.AMDGPU.csdata,"",@progbits
; Kernel info:
; codeLenInByte = 21360
; NumSgprs: 32
; NumVgprs: 190
; NumAgprs: 0
; TotalNumVgprs: 190
; ScratchSize: 0
; MemoryBound: 0
; FloatMode: 240
; IeeeMode: 1
; LDSByteSize: 0 bytes/workgroup (compile time only)
; SGPRBlocks: 3
; VGPRBlocks: 23
; NumSGPRsForWavesPerEU: 32
; NumVGPRsForWavesPerEU: 190
; AccumOffset: 192
; Occupancy: 2
; WaveLimiterHint : 1
; COMPUTE_PGM_RSRC2:SCRATCH_EN: 0
; COMPUTE_PGM_RSRC2:USER_SGPR: 2
; COMPUTE_PGM_RSRC2:TRAP_HANDLER: 0
; COMPUTE_PGM_RSRC2:TGID_X_EN: 1
; COMPUTE_PGM_RSRC2:TGID_Y_EN: 0
; COMPUTE_PGM_RSRC2:TGID_Z_EN: 0
; COMPUTE_PGM_RSRC2:TIDIG_COMP_CNT: 0
; COMPUTE_PGM_RSRC3_GFX90A:ACCUM_OFFSET: 47
; COMPUTE_PGM_RSRC3_GFX90A:TG_SPLIT: 0
	.text
	.p2alignl 6, 3212836864
	.fill 256, 4, 3212836864
	.type	__hip_cuid_c965d3b89d6f842,@object ; @__hip_cuid_c965d3b89d6f842
	.section	.bss,"aw",@nobits
	.globl	__hip_cuid_c965d3b89d6f842
__hip_cuid_c965d3b89d6f842:
	.byte	0                               ; 0x0
	.size	__hip_cuid_c965d3b89d6f842, 1

	.ident	"AMD clang version 19.0.0git (https://github.com/RadeonOpenCompute/llvm-project roc-6.4.0 25133 c7fe45cf4b819c5991fe208aaa96edf142730f1d)"
	.section	".note.GNU-stack","",@progbits
	.addrsig
	.addrsig_sym __hip_cuid_c965d3b89d6f842
	.amdgpu_metadata
---
amdhsa.kernels:
  - .agpr_count:     0
    .args:
      - .actual_access:  read_only
        .address_space:  global
        .offset:         0
        .size:           8
        .value_kind:     global_buffer
      - .offset:         8
        .size:           8
        .value_kind:     by_value
      - .actual_access:  read_only
        .address_space:  global
        .offset:         16
        .size:           8
        .value_kind:     global_buffer
      - .actual_access:  read_only
        .address_space:  global
        .offset:         24
        .size:           8
        .value_kind:     global_buffer
      - .offset:         32
        .size:           8
        .value_kind:     by_value
      - .actual_access:  read_only
        .address_space:  global
        .offset:         40
        .size:           8
        .value_kind:     global_buffer
      - .actual_access:  read_only
        .address_space:  global
        .offset:         48
        .size:           8
        .value_kind:     global_buffer
      - .offset:         56
        .size:           4
        .value_kind:     by_value
      - .actual_access:  read_only
        .address_space:  global
        .offset:         64
        .size:           8
        .value_kind:     global_buffer
      - .actual_access:  read_only
        .address_space:  global
        .offset:         72
        .size:           8
        .value_kind:     global_buffer
      - .address_space:  global
        .offset:         80
        .size:           8
        .value_kind:     global_buffer
    .group_segment_fixed_size: 0
    .kernarg_segment_align: 8
    .kernarg_segment_size: 88
    .language:       OpenCL C
    .language_version:
      - 2
      - 0
    .max_flat_workgroup_size: 108
    .name:           fft_rtc_back_len3240_factors_3_3_10_6_6_wgs_108_tpt_108_halfLds_dp_ip_CI_unitstride_sbrr_C2R_dirReg
    .private_segment_fixed_size: 0
    .sgpr_count:     32
    .sgpr_spill_count: 0
    .symbol:         fft_rtc_back_len3240_factors_3_3_10_6_6_wgs_108_tpt_108_halfLds_dp_ip_CI_unitstride_sbrr_C2R_dirReg.kd
    .uniform_work_group_size: 1
    .uses_dynamic_stack: false
    .vgpr_count:     190
    .vgpr_spill_count: 0
    .wavefront_size: 64
amdhsa.target:   amdgcn-amd-amdhsa--gfx950
amdhsa.version:
  - 1
  - 2
...

	.end_amdgpu_metadata
